;; amdgpu-corpus repo=ROCm/rocFFT kind=compiled arch=gfx1030 opt=O3
	.text
	.amdgcn_target "amdgcn-amd-amdhsa--gfx1030"
	.amdhsa_code_object_version 6
	.protected	bluestein_single_fwd_len2028_dim1_dp_op_CI_CI ; -- Begin function bluestein_single_fwd_len2028_dim1_dp_op_CI_CI
	.globl	bluestein_single_fwd_len2028_dim1_dp_op_CI_CI
	.p2align	8
	.type	bluestein_single_fwd_len2028_dim1_dp_op_CI_CI,@function
bluestein_single_fwd_len2028_dim1_dp_op_CI_CI: ; @bluestein_single_fwd_len2028_dim1_dp_op_CI_CI
; %bb.0:
	s_load_dwordx4 s[12:15], s[4:5], 0x28
	v_mul_u32_u24_e32 v1, 0x1a5, v0
	s_mov_b64 s[50:51], s[2:3]
	s_mov_b64 s[48:49], s[0:1]
	v_mov_b32_e32 v5, 0
	s_add_u32 s48, s48, s7
	v_lshrrev_b32_e32 v1, 16, v1
	s_addc_u32 s49, s49, 0
	s_mov_b32 s0, exec_lo
	v_add_nc_u32_e32 v4, s6, v1
	s_waitcnt lgkmcnt(0)
	v_cmpx_gt_u64_e64 s[12:13], v[4:5]
	s_cbranch_execz .LBB0_18
; %bb.1:
	s_clause 0x1
	s_load_dwordx4 s[8:11], s[4:5], 0x18
	s_load_dwordx4 s[0:3], s[4:5], 0x0
	v_mul_lo_u16 v1, 0x9c, v1
	v_mov_b32_e32 v5, v4
	s_mov_b32 s26, 0x42a4c3d2
	s_mov_b32 s30, 0x66966769
	;; [unrolled: 1-line block ×3, first 2 shown]
	v_sub_nc_u16 v20, v0, v1
	s_mov_b32 s22, 0x24c2f84
	s_mov_b32 s28, 0x4bc48dbf
	;; [unrolled: 1-line block ×4, first 2 shown]
	v_and_b32_e32 v220, 0xffff, v20
	s_mov_b32 s27, 0xbfea55e2
	s_mov_b32 s31, 0xbfefc445
	;; [unrolled: 1-line block ×4, first 2 shown]
	v_lshlrev_b32_e32 v255, 4, v220
	s_mov_b32 s29, 0xbfcea1e5
	s_mov_b32 s12, 0xd0032e0c
	s_waitcnt lgkmcnt(0)
	s_load_dwordx4 s[16:19], s[8:9], 0x0
	buffer_store_dword v5, off, s[48:51], 0 ; 4-byte Folded Spill
	buffer_store_dword v6, off, s[48:51], 0 offset:4 ; 4-byte Folded Spill
	v_add_co_u32 v28, s6, s0, v255
	v_add_co_ci_u32_e64 v29, null, s1, 0, s6
	global_load_dwordx4 v[50:53], v255, s[0:1]
	s_mov_b32 s13, 0xbfe7f3cc
	s_mov_b32 s37, 0x3fe5384d
	;; [unrolled: 1-line block ×7, first 2 shown]
	s_load_dwordx2 s[4:5], s[4:5], 0x38
                                        ; implicit-def: $vgpr160_vgpr161
	s_waitcnt lgkmcnt(0)
	v_mad_u64_u32 v[0:1], null, s18, v4, 0
	v_mad_u64_u32 v[2:3], null, s16, v220, 0
	s_mul_i32 s1, s17, 0x9c0
	s_mul_hi_u32 s6, s16, 0x9c0
	s_mul_i32 s0, s16, 0x9c0
	s_add_i32 s1, s6, s1
	s_mov_b32 s6, 0xebaa3ed8
	s_mov_b32 s7, 0x3fbedb7d
	v_mad_u64_u32 v[4:5], null, s19, v4, v[1:2]
	s_mov_b32 s18, 0x1ea71119
	s_mov_b32 s19, 0x3fe22d96
	v_mad_u64_u32 v[5:6], null, s17, v220, v[3:4]
	v_mov_b32_e32 v1, v4
	s_mov_b32 s16, 0x93053d00
	s_mov_b32 s17, 0xbfef11f4
	v_lshlrev_b64 v[0:1], 4, v[0:1]
	v_mov_b32_e32 v3, v5
	v_add_co_u32 v0, vcc_lo, s14, v0
	v_lshlrev_b64 v[2:3], 4, v[2:3]
	v_add_co_ci_u32_e32 v1, vcc_lo, s15, v1, vcc_lo
	s_mov_b32 s14, 0xb2365da1
	s_mov_b32 s15, 0xbfd6b1d8
	v_add_co_u32 v4, vcc_lo, v0, v2
	v_add_co_ci_u32_e32 v5, vcc_lo, v1, v3, vcc_lo
	v_add_co_u32 v6, vcc_lo, 0x800, v28
	v_add_co_ci_u32_e32 v7, vcc_lo, 0, v29, vcc_lo
	;; [unrolled: 2-line block ×3, first 2 shown]
	global_load_dwordx4 v[0:3], v[4:5], off
	global_load_dwordx4 v[46:49], v[6:7], off offset:448
	global_load_dwordx4 v[4:7], v[8:9], off
	v_add_co_u32 v10, vcc_lo, 0x1000, v28
	v_add_co_ci_u32_e32 v11, vcc_lo, 0, v29, vcc_lo
	v_add_co_u32 v12, vcc_lo, v8, s0
	v_add_co_ci_u32_e32 v13, vcc_lo, s1, v9, vcc_lo
	;; [unrolled: 2-line block ×4, first 2 shown]
	global_load_dwordx4 v[66:69], v[10:11], off offset:896
	global_load_dwordx4 v[8:11], v[12:13], off
	global_load_dwordx4 v[58:61], v[14:15], off offset:1344
	global_load_dwordx4 v[12:15], v[16:17], off
	v_add_co_u32 v18, vcc_lo, 0x2000, v28
	v_add_co_ci_u32_e32 v19, vcc_lo, 0, v29, vcc_lo
	v_add_co_u32 v21, vcc_lo, v16, s0
	v_add_co_ci_u32_e32 v22, vcc_lo, s1, v17, vcc_lo
	;; [unrolled: 2-line block ×5, first 2 shown]
	global_load_dwordx4 v[62:65], v[18:19], off offset:1792
	global_load_dwordx4 v[16:19], v[21:22], off
	global_load_dwordx4 v[42:45], v[23:24], off offset:192
	global_load_dwordx4 v[21:24], v[25:26], off
	v_add_co_u32 v25, vcc_lo, v25, s0
	v_add_co_ci_u32_e32 v26, vcc_lo, s1, v26, vcc_lo
	global_load_dwordx4 v[54:57], v[30:31], off offset:640
	global_load_dwordx4 v[30:33], v[25:26], off
	s_waitcnt vmcnt(12)
	v_mul_f64 v[34:35], v[2:3], v[52:53]
	v_mul_f64 v[36:37], v[0:1], v[52:53]
	s_waitcnt vmcnt(10)
	v_mul_f64 v[38:39], v[6:7], v[48:49]
	v_mul_f64 v[40:41], v[4:5], v[48:49]
	v_fma_f64 v[0:1], v[0:1], v[50:51], v[34:35]
	buffer_store_dword v50, off, s[48:51], 0 offset:44 ; 4-byte Folded Spill
	buffer_store_dword v51, off, s[48:51], 0 offset:48 ; 4-byte Folded Spill
	;; [unrolled: 1-line block ×4, first 2 shown]
	v_fma_f64 v[4:5], v[4:5], v[46:47], v[38:39]
	buffer_store_dword v46, off, s[48:51], 0 offset:28 ; 4-byte Folded Spill
	buffer_store_dword v47, off, s[48:51], 0 offset:32 ; 4-byte Folded Spill
	;; [unrolled: 1-line block ×4, first 2 shown]
	s_waitcnt vmcnt(8)
	v_mul_f64 v[34:35], v[10:11], v[68:69]
	s_waitcnt vmcnt(6)
	v_mul_f64 v[38:39], v[14:15], v[60:61]
	v_fma_f64 v[2:3], v[2:3], v[50:51], -v[36:37]
	v_mul_f64 v[36:37], v[8:9], v[68:69]
	v_fma_f64 v[6:7], v[6:7], v[46:47], -v[40:41]
	v_mul_f64 v[40:41], v[12:13], v[60:61]
	v_fma_f64 v[8:9], v[8:9], v[66:67], v[34:35]
	buffer_store_dword v66, off, s[48:51], 0 offset:124 ; 4-byte Folded Spill
	buffer_store_dword v67, off, s[48:51], 0 offset:128 ; 4-byte Folded Spill
	;; [unrolled: 1-line block ×4, first 2 shown]
	v_fma_f64 v[12:13], v[12:13], v[58:59], v[38:39]
	buffer_store_dword v58, off, s[48:51], 0 offset:76 ; 4-byte Folded Spill
	buffer_store_dword v59, off, s[48:51], 0 offset:80 ; 4-byte Folded Spill
	;; [unrolled: 1-line block ×4, first 2 shown]
	s_waitcnt vmcnt(4)
	v_mul_f64 v[34:35], v[18:19], v[64:65]
	s_waitcnt vmcnt(2)
	v_mul_f64 v[38:39], v[23:24], v[44:45]
	v_fma_f64 v[10:11], v[10:11], v[66:67], -v[36:37]
	v_mul_f64 v[36:37], v[16:17], v[64:65]
	v_fma_f64 v[14:15], v[14:15], v[58:59], -v[40:41]
	v_mul_f64 v[40:41], v[21:22], v[44:45]
	v_fma_f64 v[16:17], v[16:17], v[62:63], v[34:35]
	buffer_store_dword v62, off, s[48:51], 0 offset:108 ; 4-byte Folded Spill
	buffer_store_dword v63, off, s[48:51], 0 offset:112 ; 4-byte Folded Spill
	;; [unrolled: 1-line block ×4, first 2 shown]
	v_fma_f64 v[21:22], v[21:22], v[42:43], v[38:39]
	buffer_store_dword v42, off, s[48:51], 0 offset:12 ; 4-byte Folded Spill
	buffer_store_dword v43, off, s[48:51], 0 offset:16 ; 4-byte Folded Spill
	;; [unrolled: 1-line block ×4, first 2 shown]
	s_waitcnt vmcnt(0)
	v_mul_f64 v[34:35], v[32:33], v[56:57]
	v_add_co_u32 v38, vcc_lo, 0x4000, v28
	v_add_co_ci_u32_e32 v39, vcc_lo, 0, v29, vcc_lo
	v_add_co_u32 v25, vcc_lo, v25, s0
	v_add_co_ci_u32_e32 v26, vcc_lo, s1, v26, vcc_lo
	v_fma_f64 v[52:53], v[30:31], v[54:55], v[34:35]
	v_fma_f64 v[18:19], v[18:19], v[62:63], -v[36:37]
	v_mul_f64 v[36:37], v[30:31], v[56:57]
	v_fma_f64 v[23:24], v[23:24], v[42:43], -v[40:41]
	global_load_dwordx4 v[38:41], v[38:39], off offset:1088
	buffer_store_dword v54, off, s[48:51], 0 offset:60 ; 4-byte Folded Spill
	buffer_store_dword v55, off, s[48:51], 0 offset:64 ; 4-byte Folded Spill
	;; [unrolled: 1-line block ×4, first 2 shown]
	v_fma_f64 v[54:55], v[32:33], v[54:55], -v[36:37]
	global_load_dwordx4 v[30:33], v[25:26], off
	v_add_co_u32 v25, vcc_lo, v25, s0
	v_add_co_ci_u32_e32 v26, vcc_lo, s1, v26, vcc_lo
	s_waitcnt vmcnt(0)
	v_mul_f64 v[34:35], v[32:33], v[40:41]
	v_mul_f64 v[36:37], v[30:31], v[40:41]
	v_fma_f64 v[56:57], v[30:31], v[38:39], v[34:35]
	buffer_store_dword v38, off, s[48:51], 0 offset:92 ; 4-byte Folded Spill
	buffer_store_dword v39, off, s[48:51], 0 offset:96 ; 4-byte Folded Spill
	buffer_store_dword v40, off, s[48:51], 0 offset:100 ; 4-byte Folded Spill
	buffer_store_dword v41, off, s[48:51], 0 offset:104 ; 4-byte Folded Spill
	v_add_co_u32 v30, vcc_lo, 0x4800, v28
	v_add_co_ci_u32_e32 v31, vcc_lo, 0, v29, vcc_lo
	v_fma_f64 v[58:59], v[32:33], v[38:39], -v[36:37]
	global_load_dwordx4 v[32:35], v[30:31], off offset:1536
	global_load_dwordx4 v[36:39], v[25:26], off
	v_add_co_u32 v25, vcc_lo, v25, s0
	v_add_co_ci_u32_e32 v26, vcc_lo, s1, v26, vcc_lo
	s_waitcnt vmcnt(0)
	v_mul_f64 v[30:31], v[38:39], v[34:35]
	v_mul_f64 v[40:41], v[36:37], v[34:35]
	v_fma_f64 v[60:61], v[36:37], v[32:33], v[30:31]
	buffer_store_dword v32, off, s[48:51], 0 offset:140 ; 4-byte Folded Spill
	buffer_store_dword v33, off, s[48:51], 0 offset:144 ; 4-byte Folded Spill
	buffer_store_dword v34, off, s[48:51], 0 offset:148 ; 4-byte Folded Spill
	buffer_store_dword v35, off, s[48:51], 0 offset:152 ; 4-byte Folded Spill
	v_add_co_u32 v30, vcc_lo, 0x5000, v28
	v_add_co_ci_u32_e32 v31, vcc_lo, 0, v29, vcc_lo
	v_fma_f64 v[62:63], v[38:39], v[32:33], -v[40:41]
	global_load_dwordx4 v[32:35], v[30:31], off offset:1984
	global_load_dwordx4 v[40:43], v[25:26], off
	v_add_co_u32 v25, vcc_lo, v25, s0
	v_add_co_ci_u32_e32 v26, vcc_lo, s1, v26, vcc_lo
	s_waitcnt vmcnt(0)
	v_mul_f64 v[30:31], v[42:43], v[34:35]
	v_mul_f64 v[44:45], v[40:41], v[34:35]
	v_fma_f64 v[64:65], v[40:41], v[32:33], v[30:31]
	buffer_store_dword v32, off, s[48:51], 0 offset:156 ; 4-byte Folded Spill
	buffer_store_dword v33, off, s[48:51], 0 offset:160 ; 4-byte Folded Spill
	buffer_store_dword v34, off, s[48:51], 0 offset:164 ; 4-byte Folded Spill
	buffer_store_dword v35, off, s[48:51], 0 offset:168 ; 4-byte Folded Spill
	v_add_co_u32 v30, vcc_lo, 0x6000, v28
	v_add_co_ci_u32_e32 v31, vcc_lo, 0, v29, vcc_lo
	v_fma_f64 v[66:67], v[42:43], v[32:33], -v[44:45]
	global_load_dwordx4 v[32:35], v[30:31], off offset:384
	global_load_dwordx4 v[44:47], v[25:26], off
	v_add_co_u32 v25, vcc_lo, v25, s0
	v_add_co_ci_u32_e32 v26, vcc_lo, s1, v26, vcc_lo
	s_waitcnt vmcnt(0)
	v_mul_f64 v[30:31], v[46:47], v[34:35]
	v_mul_f64 v[48:49], v[44:45], v[34:35]
	v_fma_f64 v[68:69], v[44:45], v[32:33], v[30:31]
	buffer_store_dword v32, off, s[48:51], 0 offset:172 ; 4-byte Folded Spill
	buffer_store_dword v33, off, s[48:51], 0 offset:176 ; 4-byte Folded Spill
	buffer_store_dword v34, off, s[48:51], 0 offset:180 ; 4-byte Folded Spill
	buffer_store_dword v35, off, s[48:51], 0 offset:184 ; 4-byte Folded Spill
	v_add_co_u32 v30, vcc_lo, 0x6800, v28
	v_add_co_ci_u32_e32 v31, vcc_lo, 0, v29, vcc_lo
	v_fma_f64 v[70:71], v[46:47], v[32:33], -v[48:49]
	global_load_dwordx4 v[32:35], v[30:31], off offset:832
	global_load_dwordx4 v[48:51], v[25:26], off
	v_add_co_u32 v25, vcc_lo, v25, s0
	v_add_co_ci_u32_e32 v26, vcc_lo, s1, v26, vcc_lo
	s_mov_b32 s0, 0xe00740e9
	s_mov_b32 s1, 0x3fec55a7
	s_waitcnt vmcnt(0)
	v_mul_f64 v[30:31], v[50:51], v[34:35]
	v_mul_f64 v[74:75], v[48:49], v[34:35]
	v_fma_f64 v[72:73], v[48:49], v[32:33], v[30:31]
	buffer_store_dword v32, off, s[48:51], 0 offset:188 ; 4-byte Folded Spill
	buffer_store_dword v33, off, s[48:51], 0 offset:192 ; 4-byte Folded Spill
	;; [unrolled: 1-line block ×4, first 2 shown]
	v_add_co_u32 v30, vcc_lo, 0x7000, v28
	v_add_co_ci_u32_e32 v31, vcc_lo, 0, v29, vcc_lo
	v_cmp_gt_u16_e32 vcc_lo, 39, v20
	v_fma_f64 v[74:75], v[50:51], v[32:33], -v[74:75]
	global_load_dwordx4 v[32:35], v[30:31], off offset:1280
	global_load_dwordx4 v[76:79], v[25:26], off
	s_waitcnt vmcnt(0)
	v_mul_f64 v[25:26], v[78:79], v[34:35]
	v_mul_f64 v[30:31], v[76:77], v[34:35]
	v_fma_f64 v[76:77], v[76:77], v[32:33], v[25:26]
	buffer_store_dword v32, off, s[48:51], 0 offset:204 ; 4-byte Folded Spill
	buffer_store_dword v33, off, s[48:51], 0 offset:208 ; 4-byte Folded Spill
	;; [unrolled: 1-line block ×4, first 2 shown]
	ds_write_b128 v255, v[0:3]
	ds_write_b128 v255, v[4:7] offset:2496
	ds_write_b128 v255, v[8:11] offset:4992
	;; [unrolled: 1-line block ×8, first 2 shown]
	s_load_dwordx4 s[8:11], s[10:11], 0x0
	v_fma_f64 v[78:79], v[78:79], v[32:33], -v[30:31]
	ds_write_b128 v255, v[64:67] offset:22464
	ds_write_b128 v255, v[68:71] offset:24960
	;; [unrolled: 1-line block ×4, first 2 shown]
	s_waitcnt lgkmcnt(0)
	s_waitcnt_vscnt null, 0x0
	s_barrier
	buffer_gl0_inv
	ds_read_b128 v[52:55], v255
	ds_read_b128 v[56:59], v255 offset:2496
	ds_read_b128 v[60:63], v255 offset:4992
	;; [unrolled: 1-line block ×9, first 2 shown]
	s_waitcnt lgkmcnt(8)
	v_add_f64 v[0:1], v[52:53], v[56:57]
	v_add_f64 v[2:3], v[54:55], v[58:59]
	s_waitcnt lgkmcnt(0)
	v_add_f64 v[84:85], v[68:69], -v[12:13]
	v_add_f64 v[86:87], v[70:71], -v[14:15]
	v_add_f64 v[0:1], v[0:1], v[60:61]
	v_add_f64 v[2:3], v[2:3], v[62:63]
	v_mul_f64 v[140:141], v[84:85], s[36:37]
	v_mul_f64 v[138:139], v[86:87], s[36:37]
	v_add_f64 v[0:1], v[0:1], v[64:65]
	v_add_f64 v[2:3], v[2:3], v[66:67]
	;; [unrolled: 1-line block ×9, first 2 shown]
	v_add_f64 v[78:79], v[78:79], -v[82:83]
	v_add_f64 v[0:1], v[76:77], v[80:81]
	v_add_f64 v[76:77], v[76:77], -v[80:81]
	v_add_f64 v[16:17], v[4:5], v[80:81]
	v_add_f64 v[18:19], v[6:7], v[82:83]
	;; [unrolled: 1-line block ×4, first 2 shown]
	v_add_f64 v[72:73], v[72:73], -v[8:9]
	v_add_f64 v[82:83], v[74:75], -v[10:11]
	v_add_f64 v[16:17], v[16:17], v[8:9]
	v_add_f64 v[18:19], v[18:19], v[10:11]
	v_add_f64 v[8:9], v[68:69], v[12:13]
	v_add_f64 v[10:11], v[70:71], v[14:15]
	v_mul_f64 v[144:145], v[72:73], s[34:35]
	v_mul_f64 v[142:143], v[82:83], s[34:35]
	v_add_f64 v[25:26], v[16:17], v[12:13]
	v_add_f64 v[30:31], v[18:19], v[14:15]
	ds_read_b128 v[16:19], v255 offset:24960
	ds_read_b128 v[21:24], v255 offset:27456
	s_waitcnt lgkmcnt(1)
	v_add_f64 v[12:13], v[64:65], v[16:17]
	v_add_f64 v[14:15], v[66:67], v[18:19]
	v_add_f64 v[88:89], v[64:65], -v[16:17]
	v_add_f64 v[90:91], v[66:67], -v[18:19]
	v_add_f64 v[16:17], v[25:26], v[16:17]
	v_add_f64 v[18:19], v[30:31], v[18:19]
	s_waitcnt lgkmcnt(0)
	v_add_f64 v[68:69], v[60:61], v[21:22]
	v_add_f64 v[70:71], v[62:63], v[23:24]
	v_add_f64 v[92:93], v[60:61], -v[21:22]
	v_add_f64 v[94:95], v[62:63], -v[23:24]
	v_add_f64 v[21:22], v[16:17], v[21:22]
	v_add_f64 v[23:24], v[18:19], v[23:24]
	ds_read_b128 v[16:19], v255 offset:29952
	s_waitcnt lgkmcnt(0)
	s_barrier
	buffer_gl0_inv
	v_add_f64 v[25:26], v[58:59], -v[18:19]
	v_add_f64 v[30:31], v[56:57], v[16:17]
	v_add_f64 v[60:61], v[58:59], v[18:19]
	v_add_f64 v[62:63], v[56:57], -v[16:17]
	v_add_f64 v[56:57], v[21:22], v[16:17]
	v_add_f64 v[58:59], v[23:24], v[18:19]
	v_mul_f64 v[16:17], v[25:26], s[24:25]
	v_mul_f64 v[18:19], v[25:26], s[26:27]
	;; [unrolled: 1-line block ×10, first 2 shown]
	v_fma_f64 v[66:67], v[30:31], s[0:1], -v[16:17]
	v_fma_f64 v[16:17], v[30:31], s[0:1], v[16:17]
	v_fma_f64 v[74:75], v[30:31], s[18:19], -v[18:19]
	v_fma_f64 v[18:19], v[30:31], s[18:19], v[18:19]
	;; [unrolled: 2-line block ×6, first 2 shown]
	v_mul_f64 v[30:31], v[62:63], s[24:25]
	v_mul_f64 v[62:63], v[62:63], s[28:29]
	v_fma_f64 v[112:113], v[60:61], s[18:19], v[80:81]
	v_fma_f64 v[80:81], v[60:61], s[18:19], -v[80:81]
	v_fma_f64 v[114:115], v[60:61], s[6:7], v[104:105]
	v_fma_f64 v[104:105], v[60:61], s[6:7], -v[104:105]
	;; [unrolled: 2-line block ×4, first 2 shown]
	s_mov_b32 s25, 0x3fddbe06
	v_add_f64 v[122:123], v[52:53], v[74:75]
	v_add_f64 v[74:75], v[52:53], v[18:19]
	;; [unrolled: 1-line block ×4, first 2 shown]
	v_mul_f64 v[21:22], v[94:95], s[26:27]
	v_add_f64 v[130:131], v[52:53], v[98:99]
	v_add_f64 v[132:133], v[52:53], v[23:24]
	;; [unrolled: 1-line block ×5, first 2 shown]
	v_fma_f64 v[110:111], v[60:61], s[0:1], v[30:31]
	v_fma_f64 v[30:31], v[60:61], s[0:1], -v[30:31]
	v_fma_f64 v[120:121], v[60:61], s[16:17], v[62:63]
	v_fma_f64 v[60:61], v[60:61], s[16:17], -v[62:63]
	v_add_f64 v[62:63], v[52:53], v[66:67]
	v_mul_f64 v[25:26], v[92:93], s[26:27]
	v_add_f64 v[112:113], v[54:55], v[112:113]
	v_add_f64 v[80:81], v[54:55], v[80:81]
	;; [unrolled: 1-line block ×8, first 2 shown]
	v_mul_f64 v[64:65], v[86:87], s[20:21]
	v_mul_f64 v[100:101], v[82:83], s[22:23]
	v_fma_f64 v[23:24], v[68:69], s[18:19], -v[21:22]
	v_fma_f64 v[21:22], v[68:69], s[18:19], v[21:22]
	v_mul_f64 v[102:103], v[72:73], s[22:23]
	v_mul_f64 v[146:147], v[78:79], s[24:25]
	;; [unrolled: 1-line block ×3, first 2 shown]
	v_add_f64 v[66:67], v[54:55], v[110:111]
	v_add_f64 v[110:111], v[52:53], v[16:17]
	;; [unrolled: 1-line block ×4, first 2 shown]
	v_mul_f64 v[60:61], v[90:91], s[30:31]
	v_add_f64 v[16:17], v[54:55], v[108:109]
	v_add_f64 v[104:105], v[54:55], v[120:121]
	v_fma_f64 v[52:53], v[70:71], s[18:19], v[25:26]
	v_fma_f64 v[25:26], v[70:71], s[18:19], -v[25:26]
	v_mul_f64 v[108:109], v[78:79], s[28:29]
	v_add_f64 v[23:24], v[23:24], v[62:63]
	v_mul_f64 v[62:63], v[88:89], s[30:31]
	v_add_f64 v[21:22], v[21:22], v[110:111]
	v_fma_f64 v[54:55], v[12:13], s[6:7], -v[60:61]
	v_add_f64 v[52:53], v[52:53], v[66:67]
	v_mul_f64 v[66:67], v[84:85], s[20:21]
	v_add_f64 v[25:26], v[25:26], v[30:31]
	v_fma_f64 v[30:31], v[12:13], s[6:7], v[60:61]
	v_add_f64 v[23:24], v[54:55], v[23:24]
	v_fma_f64 v[54:55], v[14:15], s[6:7], v[62:63]
	v_add_f64 v[21:22], v[30:31], v[21:22]
	v_fma_f64 v[30:31], v[14:15], s[6:7], -v[62:63]
	v_add_f64 v[52:53], v[54:55], v[52:53]
	v_fma_f64 v[54:55], v[8:9], s[14:15], -v[64:65]
	v_add_f64 v[25:26], v[30:31], v[25:26]
	v_fma_f64 v[30:31], v[8:9], s[14:15], v[64:65]
	v_mul_f64 v[64:65], v[94:95], s[28:29]
	v_add_f64 v[23:24], v[54:55], v[23:24]
	v_fma_f64 v[54:55], v[10:11], s[14:15], v[66:67]
	v_add_f64 v[21:22], v[30:31], v[21:22]
	v_fma_f64 v[30:31], v[10:11], s[14:15], -v[66:67]
	v_mul_f64 v[66:67], v[92:93], s[28:29]
	v_add_f64 v[52:53], v[54:55], v[52:53]
	v_fma_f64 v[54:55], v[4:5], s[12:13], -v[100:101]
	v_add_f64 v[25:26], v[30:31], v[25:26]
	v_fma_f64 v[30:31], v[4:5], s[12:13], v[100:101]
	v_add_f64 v[23:24], v[54:55], v[23:24]
	v_fma_f64 v[54:55], v[6:7], s[12:13], v[102:103]
	v_add_f64 v[21:22], v[30:31], v[21:22]
	v_fma_f64 v[30:31], v[6:7], s[12:13], -v[102:103]
	v_add_f64 v[54:55], v[54:55], v[52:53]
	v_fma_f64 v[52:53], v[0:1], s[16:17], -v[108:109]
	v_add_f64 v[25:26], v[30:31], v[25:26]
	v_fma_f64 v[30:31], v[0:1], s[16:17], v[108:109]
	v_mul_f64 v[108:109], v[90:91], s[38:39]
	v_add_f64 v[52:53], v[52:53], v[23:24]
	v_mul_f64 v[23:24], v[76:77], s[28:29]
	v_add_f64 v[100:101], v[30:31], v[21:22]
	v_mul_f64 v[30:31], v[92:93], s[20:21]
	v_fma_f64 v[110:111], v[12:13], s[14:15], -v[108:109]
	v_fma_f64 v[108:109], v[12:13], s[14:15], v[108:109]
	v_fma_f64 v[120:121], v[2:3], s[16:17], v[23:24]
	v_fma_f64 v[23:24], v[2:3], s[16:17], -v[23:24]
	v_add_f64 v[54:55], v[120:121], v[54:55]
	v_add_f64 v[102:103], v[23:24], v[25:26]
	v_mul_f64 v[25:26], v[94:95], s[20:21]
	v_mul_f64 v[120:121], v[90:91], s[28:29]
	v_fma_f64 v[23:24], v[70:71], s[14:15], v[30:31]
	v_fma_f64 v[30:31], v[70:71], s[14:15], -v[30:31]
	v_fma_f64 v[21:22], v[68:69], s[14:15], -v[25:26]
	;; [unrolled: 1-line block ×3, first 2 shown]
	v_add_f64 v[23:24], v[23:24], v[112:113]
	v_fma_f64 v[25:26], v[68:69], s[14:15], v[25:26]
	v_add_f64 v[30:31], v[30:31], v[80:81]
	v_add_f64 v[21:22], v[21:22], v[122:123]
	v_mul_f64 v[122:123], v[88:89], s[28:29]
	s_mov_b32 s29, 0x3fea55e2
	v_add_f64 v[25:26], v[25:26], v[74:75]
	v_add_f64 v[21:22], v[60:61], v[21:22]
	v_fma_f64 v[60:61], v[14:15], s[16:17], v[122:123]
	v_add_f64 v[23:24], v[60:61], v[23:24]
	v_fma_f64 v[60:61], v[8:9], s[12:13], -v[138:139]
	v_add_f64 v[21:22], v[60:61], v[21:22]
	v_fma_f64 v[60:61], v[10:11], s[12:13], v[140:141]
	v_add_f64 v[23:24], v[60:61], v[23:24]
	v_fma_f64 v[60:61], v[4:5], s[6:7], -v[142:143]
	;; [unrolled: 4-line block ×4, first 2 shown]
	v_fma_f64 v[23:24], v[70:71], s[16:17], v[66:67]
	v_fma_f64 v[64:65], v[68:69], s[16:17], v[64:65]
	v_fma_f64 v[66:67], v[70:71], s[16:17], -v[66:67]
	v_add_f64 v[21:22], v[21:22], v[124:125]
	v_add_f64 v[23:24], v[23:24], v[114:115]
	;; [unrolled: 1-line block ×5, first 2 shown]
	v_mul_f64 v[110:111], v[88:89], s[38:39]
	v_add_f64 v[64:65], v[108:109], v[64:65]
	v_fma_f64 v[112:113], v[14:15], s[14:15], v[110:111]
	v_fma_f64 v[108:109], v[14:15], s[14:15], -v[110:111]
	v_add_f64 v[23:24], v[112:113], v[23:24]
	v_mul_f64 v[112:113], v[86:87], s[24:25]
	v_add_f64 v[66:67], v[108:109], v[66:67]
	v_fma_f64 v[114:115], v[8:9], s[0:1], -v[112:113]
	v_fma_f64 v[108:109], v[8:9], s[0:1], v[112:113]
	v_mul_f64 v[112:113], v[94:95], s[36:37]
	v_add_f64 v[21:22], v[114:115], v[21:22]
	v_mul_f64 v[114:115], v[84:85], s[24:25]
	v_add_f64 v[64:65], v[108:109], v[64:65]
	v_fma_f64 v[124:125], v[10:11], s[0:1], v[114:115]
	v_fma_f64 v[108:109], v[10:11], s[0:1], -v[114:115]
	v_mul_f64 v[114:115], v[92:93], s[36:37]
	v_add_f64 v[23:24], v[124:125], v[23:24]
	v_mul_f64 v[124:125], v[82:83], s[26:27]
	v_add_f64 v[66:67], v[108:109], v[66:67]
	v_fma_f64 v[150:151], v[4:5], s[18:19], -v[124:125]
	v_fma_f64 v[108:109], v[4:5], s[18:19], v[124:125]
	v_add_f64 v[21:22], v[150:151], v[21:22]
	v_mul_f64 v[150:151], v[72:73], s[26:27]
	v_add_f64 v[64:65], v[108:109], v[64:65]
	v_fma_f64 v[152:153], v[6:7], s[18:19], v[150:151]
	v_fma_f64 v[108:109], v[6:7], s[18:19], -v[150:151]
	v_add_f64 v[23:24], v[152:153], v[23:24]
	v_mul_f64 v[152:153], v[78:79], s[22:23]
	v_add_f64 v[66:67], v[108:109], v[66:67]
	v_fma_f64 v[154:155], v[0:1], s[12:13], -v[152:153]
	v_fma_f64 v[108:109], v[0:1], s[12:13], v[152:153]
	v_add_f64 v[21:22], v[154:155], v[21:22]
	v_mul_f64 v[154:155], v[76:77], s[22:23]
	v_add_f64 v[64:65], v[108:109], v[64:65]
	v_fma_f64 v[108:109], v[68:69], s[12:13], -v[112:113]
	v_fma_f64 v[112:113], v[68:69], s[12:13], v[112:113]
	v_fma_f64 v[110:111], v[2:3], s[12:13], -v[154:155]
	v_fma_f64 v[156:157], v[2:3], s[12:13], v[154:155]
	v_add_f64 v[108:109], v[108:109], v[130:131]
	v_add_f64 v[112:113], v[112:113], v[132:133]
	;; [unrolled: 1-line block ×3, first 2 shown]
	v_fma_f64 v[110:111], v[70:71], s[12:13], v[114:115]
	v_fma_f64 v[114:115], v[70:71], s[12:13], -v[114:115]
	v_add_f64 v[23:24], v[156:157], v[23:24]
	v_add_f64 v[110:111], v[110:111], v[116:117]
	v_mul_f64 v[116:117], v[90:91], s[24:25]
	v_add_f64 v[114:115], v[114:115], v[134:135]
	v_fma_f64 v[124:125], v[12:13], s[0:1], -v[116:117]
	v_fma_f64 v[116:117], v[12:13], s[0:1], v[116:117]
	v_add_f64 v[108:109], v[124:125], v[108:109]
	v_mul_f64 v[124:125], v[88:89], s[24:25]
	v_add_f64 v[112:113], v[116:117], v[112:113]
	v_fma_f64 v[126:127], v[14:15], s[0:1], v[124:125]
	v_fma_f64 v[116:117], v[14:15], s[0:1], -v[124:125]
	v_add_f64 v[110:111], v[126:127], v[110:111]
	v_mul_f64 v[126:127], v[86:87], s[30:31]
	v_add_f64 v[114:115], v[116:117], v[114:115]
	v_fma_f64 v[128:129], v[8:9], s[6:7], -v[126:127]
	v_fma_f64 v[116:117], v[8:9], s[6:7], v[126:127]
	v_mul_f64 v[126:127], v[92:93], s[34:35]
	v_mul_f64 v[92:93], v[92:93], s[24:25]
	v_add_f64 v[108:109], v[128:129], v[108:109]
	v_mul_f64 v[128:129], v[84:85], s[30:31]
	s_mov_b32 s31, 0x3fcea1e5
	s_mov_b32 s30, s28
	s_mov_b32 s28, s26
	v_add_f64 v[112:113], v[116:117], v[112:113]
	v_fma_f64 v[130:131], v[10:11], s[6:7], v[128:129]
	v_fma_f64 v[116:117], v[10:11], s[6:7], -v[128:129]
	v_fma_f64 v[128:129], v[70:71], s[6:7], v[126:127]
	v_add_f64 v[110:111], v[130:131], v[110:111]
	v_mul_f64 v[130:131], v[82:83], s[30:31]
	v_add_f64 v[114:115], v[116:117], v[114:115]
	v_add_f64 v[118:119], v[128:129], v[118:119]
	v_mul_f64 v[128:129], v[90:91], s[26:27]
	v_mul_f64 v[90:91], v[90:91], s[22:23]
	v_fma_f64 v[150:151], v[4:5], s[16:17], -v[130:131]
	v_fma_f64 v[116:117], v[4:5], s[16:17], v[130:131]
	v_fma_f64 v[130:131], v[12:13], s[18:19], -v[128:129]
	v_add_f64 v[108:109], v[150:151], v[108:109]
	v_mul_f64 v[150:151], v[72:73], s[30:31]
	v_add_f64 v[112:113], v[116:117], v[112:113]
	v_fma_f64 v[152:153], v[6:7], s[16:17], v[150:151]
	v_fma_f64 v[116:117], v[6:7], s[16:17], -v[150:151]
	v_add_f64 v[110:111], v[152:153], v[110:111]
	v_mul_f64 v[152:153], v[78:79], s[28:29]
	v_add_f64 v[114:115], v[116:117], v[114:115]
	v_fma_f64 v[154:155], v[0:1], s[18:19], -v[152:153]
	v_fma_f64 v[116:117], v[0:1], s[18:19], v[152:153]
	v_add_f64 v[108:109], v[154:155], v[108:109]
	v_mul_f64 v[154:155], v[76:77], s[28:29]
	v_add_f64 v[112:113], v[116:117], v[112:113]
	v_fma_f64 v[124:125], v[2:3], s[18:19], -v[154:155]
	v_fma_f64 v[156:157], v[2:3], s[18:19], v[154:155]
	v_add_f64 v[114:115], v[124:125], v[114:115]
	v_mul_f64 v[124:125], v[94:95], s[34:35]
	v_mul_f64 v[94:95], v[94:95], s[24:25]
	v_add_f64 v[110:111], v[156:157], v[110:111]
	v_fma_f64 v[116:117], v[68:69], s[6:7], -v[124:125]
	v_fma_f64 v[124:125], v[68:69], s[6:7], v[124:125]
	v_add_f64 v[116:117], v[116:117], v[136:137]
	v_add_f64 v[18:19], v[124:125], v[18:19]
	v_fma_f64 v[124:125], v[70:71], s[6:7], -v[126:127]
	v_add_f64 v[116:117], v[130:131], v[116:117]
	v_mul_f64 v[130:131], v[88:89], s[26:27]
	v_add_f64 v[16:17], v[124:125], v[16:17]
	v_fma_f64 v[124:125], v[12:13], s[18:19], v[128:129]
	v_mul_f64 v[88:89], v[88:89], s[22:23]
	v_fma_f64 v[132:133], v[14:15], s[18:19], v[130:131]
	v_add_f64 v[18:19], v[124:125], v[18:19]
	v_fma_f64 v[124:125], v[14:15], s[18:19], -v[130:131]
	v_add_f64 v[118:119], v[132:133], v[118:119]
	v_mul_f64 v[132:133], v[86:87], s[30:31]
	v_mul_f64 v[86:87], v[86:87], s[28:29]
	v_add_f64 v[16:17], v[124:125], v[16:17]
	v_fma_f64 v[134:135], v[8:9], s[16:17], -v[132:133]
	v_fma_f64 v[124:125], v[8:9], s[16:17], v[132:133]
	v_add_f64 v[116:117], v[134:135], v[116:117]
	v_mul_f64 v[134:135], v[84:85], s[30:31]
	v_add_f64 v[18:19], v[124:125], v[18:19]
	v_mul_f64 v[84:85], v[84:85], s[28:29]
	v_fma_f64 v[136:137], v[10:11], s[16:17], v[134:135]
	v_fma_f64 v[124:125], v[10:11], s[16:17], -v[134:135]
	v_add_f64 v[118:119], v[136:137], v[118:119]
	v_mul_f64 v[136:137], v[82:83], s[24:25]
	v_add_f64 v[16:17], v[124:125], v[16:17]
	v_mul_f64 v[82:83], v[82:83], s[20:21]
	v_fma_f64 v[150:151], v[4:5], s[0:1], -v[136:137]
	v_fma_f64 v[124:125], v[4:5], s[0:1], v[136:137]
	v_add_f64 v[116:117], v[150:151], v[116:117]
	v_mul_f64 v[150:151], v[72:73], s[24:25]
	v_add_f64 v[18:19], v[124:125], v[18:19]
	v_mul_f64 v[72:73], v[72:73], s[20:21]
	v_fma_f64 v[152:153], v[6:7], s[0:1], v[150:151]
	v_fma_f64 v[124:125], v[6:7], s[0:1], -v[150:151]
	v_add_f64 v[118:119], v[152:153], v[118:119]
	v_mul_f64 v[152:153], v[78:79], s[20:21]
	v_add_f64 v[124:125], v[124:125], v[16:17]
	v_fma_f64 v[154:155], v[0:1], s[14:15], -v[152:153]
	v_fma_f64 v[16:17], v[0:1], s[14:15], v[152:153]
                                        ; implicit-def: $vgpr152_vgpr153
	v_add_f64 v[116:117], v[154:155], v[116:117]
	v_mul_f64 v[154:155], v[76:77], s[20:21]
	v_add_f64 v[16:17], v[16:17], v[18:19]
	v_fma_f64 v[126:127], v[2:3], s[14:15], -v[154:155]
	v_fma_f64 v[156:157], v[2:3], s[14:15], v[154:155]
	v_add_f64 v[18:19], v[126:127], v[124:125]
	v_fma_f64 v[124:125], v[68:69], s[0:1], -v[94:95]
	v_fma_f64 v[94:95], v[68:69], s[0:1], v[94:95]
	v_mul_f64 v[126:127], v[76:77], s[34:35]
	v_add_f64 v[118:119], v[156:157], v[118:119]
                                        ; implicit-def: $vgpr156_vgpr157
	v_add_f64 v[106:107], v[124:125], v[106:107]
	v_fma_f64 v[124:125], v[70:71], s[0:1], v[92:93]
	v_fma_f64 v[92:93], v[70:71], s[0:1], -v[92:93]
	v_add_f64 v[94:95], v[94:95], v[98:99]
	v_add_f64 v[104:105], v[124:125], v[104:105]
	v_fma_f64 v[124:125], v[12:13], s[12:13], -v[90:91]
	v_add_f64 v[92:93], v[92:93], v[96:97]
	v_fma_f64 v[90:91], v[12:13], s[12:13], v[90:91]
	v_fma_f64 v[12:13], v[12:13], s[16:17], v[120:121]
	v_add_f64 v[106:107], v[124:125], v[106:107]
	v_fma_f64 v[124:125], v[14:15], s[12:13], v[88:89]
	v_fma_f64 v[88:89], v[14:15], s[12:13], -v[88:89]
	v_fma_f64 v[14:15], v[14:15], s[16:17], -v[122:123]
	v_add_f64 v[90:91], v[90:91], v[94:95]
	v_add_f64 v[12:13], v[12:13], v[25:26]
	;; [unrolled: 1-line block ×3, first 2 shown]
	v_fma_f64 v[124:125], v[8:9], s[18:19], -v[86:87]
	v_add_f64 v[88:89], v[88:89], v[92:93]
	v_fma_f64 v[86:87], v[8:9], s[18:19], v[86:87]
	v_fma_f64 v[8:9], v[8:9], s[12:13], v[138:139]
	v_add_f64 v[14:15], v[14:15], v[30:31]
	v_add_f64 v[106:107], v[124:125], v[106:107]
	v_fma_f64 v[124:125], v[10:11], s[18:19], v[84:85]
	v_fma_f64 v[84:85], v[10:11], s[18:19], -v[84:85]
	v_fma_f64 v[10:11], v[10:11], s[12:13], -v[140:141]
	v_add_f64 v[86:87], v[86:87], v[90:91]
	v_add_f64 v[8:9], v[8:9], v[12:13]
	v_fma_f64 v[12:13], v[2:3], s[0:1], -v[148:149]
	v_add_f64 v[104:105], v[124:125], v[104:105]
	v_fma_f64 v[124:125], v[4:5], s[14:15], -v[82:83]
	v_add_f64 v[84:85], v[84:85], v[88:89]
	v_fma_f64 v[82:83], v[4:5], s[14:15], v[82:83]
	v_fma_f64 v[4:5], v[4:5], s[6:7], v[142:143]
	v_add_f64 v[10:11], v[10:11], v[14:15]
	v_add_f64 v[106:107], v[124:125], v[106:107]
	v_fma_f64 v[124:125], v[6:7], s[14:15], v[72:73]
	v_fma_f64 v[72:73], v[6:7], s[14:15], -v[72:73]
	v_fma_f64 v[6:7], v[6:7], s[6:7], -v[144:145]
	v_add_f64 v[82:83], v[82:83], v[86:87]
	v_fma_f64 v[86:87], v[2:3], s[6:7], -v[126:127]
	v_add_f64 v[104:105], v[124:125], v[104:105]
	v_mul_f64 v[124:125], v[78:79], s[34:35]
	v_fma_f64 v[78:79], v[2:3], s[6:7], v[126:127]
	v_add_f64 v[72:73], v[72:73], v[84:85]
	v_add_f64 v[2:3], v[4:5], v[8:9]
	;; [unrolled: 1-line block ×3, first 2 shown]
	v_fma_f64 v[76:77], v[0:1], s[6:7], -v[124:125]
	v_fma_f64 v[84:85], v[0:1], s[6:7], v[124:125]
	v_fma_f64 v[0:1], v[0:1], s[0:1], v[146:147]
	v_add_f64 v[78:79], v[78:79], v[104:105]
	v_add_f64 v[4:5], v[12:13], v[4:5]
	v_add_f64 v[76:77], v[76:77], v[106:107]
	v_add_f64 v[82:83], v[84:85], v[82:83]
	v_add_f64 v[2:3], v[0:1], v[2:3]
	v_add_f64 v[84:85], v[86:87], v[72:73]
	v_mov_b32_e32 v1, 4
	v_mul_lo_u16 v0, v20, 13
	v_lshlrev_b32_sdwa v252, v1, v0 dst_sel:DWORD dst_unused:UNUSED_PAD src0_sel:DWORD src1_sel:WORD_0
	ds_write_b128 v252, v[52:55] offset:16
	ds_write_b128 v252, v[60:63] offset:32
	;; [unrolled: 1-line block ×12, first 2 shown]
	ds_write_b128 v252, v[56:59]
	s_waitcnt lgkmcnt(0)
	s_barrier
	buffer_gl0_inv
	ds_read_b128 v[104:107], v255
	ds_read_b128 v[108:111], v255 offset:2496
	ds_read_b128 v[132:135], v255 offset:16224
	;; [unrolled: 1-line block ×11, first 2 shown]
	s_and_saveexec_b32 s0, vcc_lo
	s_cbranch_execz .LBB0_3
; %bb.2:
	ds_read_b128 v[100:103], v255 offset:7488
	ds_read_b128 v[152:155], v255 offset:15600
	;; [unrolled: 1-line block ×4, first 2 shown]
.LBB0_3:
	s_or_b32 exec_lo, exec_lo, s0
	v_and_b32_e32 v3, 0xff, v220
	v_add_co_u32 v0, null, 0x9c, v220
	v_mov_b32_e32 v4, 0x4ec5
	v_add_co_u32 v2, null, 0x138, v220
	v_mul_lo_u16 v5, 0x4f, v3
	v_add_nc_u16 v3, v220, 0x1d4
	v_mul_u32_u24_sdwa v6, v0, v4 dst_sel:DWORD dst_unused:UNUSED_PAD src0_sel:WORD_0 src1_sel:DWORD
	v_mul_u32_u24_sdwa v7, v2, v4 dst_sel:DWORD dst_unused:UNUSED_PAD src0_sel:WORD_0 src1_sel:DWORD
	v_lshrrev_b16 v32, 10, v5
	v_mul_u32_u24_sdwa v4, v3, v4 dst_sel:DWORD dst_unused:UNUSED_PAD src0_sel:WORD_0 src1_sel:DWORD
	v_lshrrev_b32_e32 v33, 18, v6
	v_lshrrev_b32_e32 v34, 18, v7
	v_mul_lo_u16 v5, v32, 13
	v_lshrrev_b32_e32 v7, 18, v4
	v_mul_lo_u16 v6, v33, 13
	v_mul_lo_u16 v4, v34, 13
	v_sub_nc_u16 v5, v220, v5
	buffer_store_dword v7, off, s[48:51], 0 offset:220 ; 4-byte Folded Spill
	v_sub_nc_u16 v35, v0, v6
	v_mul_lo_u16 v6, v7, 13
	v_sub_nc_u16 v36, v2, v4
	v_and_b32_e32 v37, 0xff, v5
	v_mul_lo_u16 v7, v35, 48
	v_sub_nc_u16 v8, v3, v6
	v_mul_lo_u16 v6, v36, 48
	v_mad_u64_u32 v[4:5], null, v37, 48, s[2:3]
	v_and_b32_e32 v7, 0xffff, v7
	v_mul_lo_u16 v10, v8, 48
	buffer_store_dword v8, off, s[48:51], 0 offset:224 ; 4-byte Folded Spill
	v_and_b32_e32 v8, 0xffff, v6
	s_clause 0x2
	global_load_dwordx4 v[92:95], v[4:5], off offset:16
	global_load_dwordx4 v[96:99], v[4:5], off
	global_load_dwordx4 v[88:91], v[4:5], off offset:32
	v_and_b32_e32 v4, 0xffff, v10
	v_add_co_u32 v6, s0, s2, v7
	v_add_co_ci_u32_e64 v7, null, s3, 0, s0
	v_add_co_u32 v8, s0, s2, v8
	v_add_co_ci_u32_e64 v9, null, s3, 0, s0
	;; [unrolled: 2-line block ×3, first 2 shown]
	s_clause 0x8
	global_load_dwordx4 v[84:87], v[6:7], off
	global_load_dwordx4 v[68:71], v[6:7], off offset:32
	global_load_dwordx4 v[80:83], v[6:7], off offset:16
	global_load_dwordx4 v[64:67], v[8:9], off
	global_load_dwordx4 v[60:63], v[8:9], off offset:16
	global_load_dwordx4 v[52:55], v[8:9], off offset:32
	;; [unrolled: 3-line block ×3, first 2 shown]
	s_waitcnt vmcnt(0) lgkmcnt(0)
	s_waitcnt_vscnt null, 0x0
	s_barrier
	buffer_gl0_inv
	v_mul_f64 v[8:9], v[134:135], v[94:95]
	v_mul_f64 v[4:5], v[146:147], v[98:99]
	v_mul_f64 v[6:7], v[144:145], v[98:99]
	v_mul_f64 v[10:11], v[132:133], v[94:95]
	v_mul_f64 v[12:13], v[150:151], v[90:91]
	v_mul_f64 v[14:15], v[148:149], v[90:91]
	v_mul_f64 v[16:17], v[138:139], v[86:87]
	v_mul_f64 v[18:19], v[136:137], v[86:87]
	v_mul_f64 v[20:21], v[118:119], v[82:83]
	v_mul_f64 v[22:23], v[116:117], v[82:83]
	v_mul_f64 v[24:25], v[142:143], v[70:71]
	v_mul_f64 v[26:27], v[140:141], v[70:71]
	v_mul_f64 v[30:31], v[122:123], v[66:67]
	v_mul_f64 v[164:165], v[120:121], v[66:67]
	v_mul_f64 v[166:167], v[126:127], v[62:63]
	v_mul_f64 v[168:169], v[124:125], v[62:63]
	v_mul_f64 v[170:171], v[130:131], v[54:55]
	v_mul_f64 v[172:173], v[128:129], v[54:55]
	v_mul_f64 v[174:175], v[154:155], v[78:79]
	v_mul_f64 v[176:177], v[152:153], v[78:79]
	v_mul_f64 v[178:179], v[158:159], v[74:75]
	v_mul_f64 v[180:181], v[156:157], v[74:75]
	v_mul_f64 v[182:183], v[162:163], v[58:59]
	v_mul_f64 v[184:185], v[160:161], v[58:59]
	v_fma_f64 v[4:5], v[144:145], v[96:97], -v[4:5]
	v_fma_f64 v[6:7], v[146:147], v[96:97], v[6:7]
	v_fma_f64 v[8:9], v[132:133], v[92:93], -v[8:9]
	v_fma_f64 v[10:11], v[134:135], v[92:93], v[10:11]
	v_fma_f64 v[12:13], v[148:149], v[88:89], -v[12:13]
	v_fma_f64 v[14:15], v[150:151], v[88:89], v[14:15]
	v_fma_f64 v[16:17], v[136:137], v[84:85], -v[16:17]
	v_fma_f64 v[18:19], v[138:139], v[84:85], v[18:19]
	v_fma_f64 v[20:21], v[116:117], v[80:81], -v[20:21]
	v_fma_f64 v[22:23], v[118:119], v[80:81], v[22:23]
	v_fma_f64 v[24:25], v[140:141], v[68:69], -v[24:25]
	v_fma_f64 v[26:27], v[142:143], v[68:69], v[26:27]
	v_fma_f64 v[30:31], v[120:121], v[64:65], -v[30:31]
	v_fma_f64 v[116:117], v[122:123], v[64:65], v[164:165]
	v_fma_f64 v[118:119], v[124:125], v[60:61], -v[166:167]
	v_fma_f64 v[120:121], v[126:127], v[60:61], v[168:169]
	v_fma_f64 v[122:123], v[128:129], v[52:53], -v[170:171]
	v_fma_f64 v[124:125], v[130:131], v[52:53], v[172:173]
	v_fma_f64 v[126:127], v[152:153], v[76:77], -v[174:175]
	v_fma_f64 v[128:129], v[154:155], v[76:77], v[176:177]
	v_fma_f64 v[130:131], v[156:157], v[72:73], -v[178:179]
	v_fma_f64 v[132:133], v[158:159], v[72:73], v[180:181]
	v_fma_f64 v[134:135], v[160:161], v[56:57], -v[182:183]
	v_fma_f64 v[136:137], v[162:163], v[56:57], v[184:185]
	v_add_f64 v[138:139], v[104:105], -v[8:9]
	v_add_f64 v[144:145], v[106:107], -v[10:11]
	;; [unrolled: 1-line block ×16, first 2 shown]
	v_fma_f64 v[132:133], v[104:105], 2.0, -v[138:139]
	v_fma_f64 v[134:135], v[106:107], 2.0, -v[144:145]
	v_fma_f64 v[26:27], v[4:5], 2.0, -v[8:9]
	v_fma_f64 v[104:105], v[6:7], 2.0, -v[10:11]
	v_add_f64 v[4:5], v[138:139], -v[10:11]
	v_add_f64 v[6:7], v[144:145], v[8:9]
	v_fma_f64 v[136:137], v[108:109], 2.0, -v[146:147]
	v_fma_f64 v[150:151], v[110:111], 2.0, -v[148:149]
	v_fma_f64 v[106:107], v[16:17], 2.0, -v[12:13]
	v_fma_f64 v[108:109], v[18:19], 2.0, -v[14:15]
	v_add_f64 v[8:9], v[146:147], -v[14:15]
	v_add_f64 v[10:11], v[148:149], v[12:13]
	;; [unrolled: 6-line block ×4, first 2 shown]
	v_add_f64 v[16:17], v[132:133], -v[26:27]
	v_add_f64 v[18:19], v[134:135], -v[104:105]
	;; [unrolled: 1-line block ×4, first 2 shown]
	v_fma_f64 v[104:105], v[146:147], 2.0, -v[8:9]
	v_fma_f64 v[106:107], v[148:149], 2.0, -v[10:11]
	v_add_f64 v[24:25], v[152:153], -v[30:31]
	v_add_f64 v[26:27], v[154:155], -v[110:111]
	v_fma_f64 v[108:109], v[118:119], 2.0, -v[12:13]
	v_fma_f64 v[110:111], v[120:121], 2.0, -v[14:15]
	v_mov_b32_e32 v30, 52
	v_mad_u16 v31, v33, 52, v35
	v_add_f64 v[160:161], v[156:157], -v[100:101]
	v_add_f64 v[162:163], v[158:159], -v[102:103]
	v_fma_f64 v[102:103], v[144:145], 2.0, -v[6:7]
	v_fma_f64 v[164:165], v[124:125], 2.0, -v[140:141]
	;; [unrolled: 1-line block ×6, first 2 shown]
	v_mul_u32_u24_sdwa v30, v32, v30 dst_sel:DWORD dst_unused:UNUSED_PAD src0_sel:WORD_0 src1_sel:DWORD
	v_mad_u16 v32, v34, 52, v36
	v_fma_f64 v[116:117], v[136:137], 2.0, -v[20:21]
	v_fma_f64 v[118:119], v[150:151], 2.0, -v[22:23]
	v_add_lshl_u32 v33, v30, v37, 4
	v_lshlrev_b32_sdwa v30, v1, v31 dst_sel:DWORD dst_unused:UNUSED_PAD src0_sel:DWORD src1_sel:WORD_0
	v_lshlrev_b32_sdwa v1, v1, v32 dst_sel:DWORD dst_unused:UNUSED_PAD src0_sel:DWORD src1_sel:WORD_0
	v_fma_f64 v[120:121], v[152:153], 2.0, -v[24:25]
	v_fma_f64 v[122:123], v[154:155], 2.0, -v[26:27]
	ds_write_b128 v33, v[4:7] offset:624
	ds_write_b128 v33, v[100:103] offset:208
	;; [unrolled: 1-line block ×3, first 2 shown]
	v_fma_f64 v[144:145], v[156:157], 2.0, -v[160:161]
	v_fma_f64 v[146:147], v[158:159], 2.0, -v[162:163]
	buffer_store_dword v33, off, s[48:51], 0 offset:240 ; 4-byte Folded Spill
	ds_write_b128 v33, v[112:115]
	ds_write_b128 v30, v[104:107] offset:208
	ds_write_b128 v30, v[20:23] offset:416
	;; [unrolled: 1-line block ×3, first 2 shown]
	buffer_store_dword v30, off, s[48:51], 0 offset:236 ; 4-byte Folded Spill
	ds_write_b128 v30, v[116:119]
	ds_write_b128 v1, v[120:123]
	ds_write_b128 v1, v[108:111] offset:208
	ds_write_b128 v1, v[24:27] offset:416
	buffer_store_dword v1, off, s[48:51], 0 offset:232 ; 4-byte Folded Spill
	ds_write_b128 v1, v[12:15] offset:624
	s_and_saveexec_b32 s0, vcc_lo
	s_cbranch_execz .LBB0_5
; %bb.4:
	s_clause 0x1
	buffer_load_dword v1, off, s[48:51], 0 offset:220
	buffer_load_dword v4, off, s[48:51], 0 offset:224
	s_waitcnt vmcnt(0)
	v_mad_u16 v1, v1, 52, v4
	v_mov_b32_e32 v4, 4
	v_lshlrev_b32_sdwa v1, v4, v1 dst_sel:DWORD dst_unused:UNUSED_PAD src0_sel:DWORD src1_sel:WORD_0
	ds_write_b128 v1, v[144:147]
	ds_write_b128 v1, v[164:167] offset:208
	ds_write_b128 v1, v[160:163] offset:416
	;; [unrolled: 1-line block ×3, first 2 shown]
.LBB0_5:
	s_or_b32 exec_lo, exec_lo, s0
	s_waitcnt lgkmcnt(0)
	s_waitcnt_vscnt null, 0x0
	s_barrier
	buffer_gl0_inv
	ds_read_b128 v[168:171], v255
	ds_read_b128 v[156:159], v255 offset:2496
	ds_read_b128 v[120:123], v255 offset:10816
	;; [unrolled: 1-line block ×11, first 2 shown]
	v_cmp_gt_u16_e64 s0, 52, v220
	s_and_saveexec_b32 s1, s0
	s_cbranch_execz .LBB0_7
; %bb.6:
	ds_read_b128 v[144:147], v255 offset:9984
	ds_read_b128 v[164:167], v255 offset:20800
	;; [unrolled: 1-line block ×3, first 2 shown]
.LBB0_7:
	s_or_b32 exec_lo, exec_lo, s1
	v_and_b32_e32 v1, 0xff, v220
	v_mov_b32_e32 v32, 0x9c
	s_mov_b32 s6, 0xe8584caa
	s_mov_b32 s7, 0x3febb67a
	;; [unrolled: 1-line block ×3, first 2 shown]
	v_mul_lo_u16 v1, 0x4f, v1
	s_mov_b32 s12, s6
	v_lshrrev_b16 v14, 12, v1
	v_mul_lo_u16 v1, v14, 52
	v_mul_u32_u24_sdwa v14, v14, v32 dst_sel:DWORD dst_unused:UNUSED_PAD src0_sel:WORD_0 src1_sel:DWORD
	v_sub_nc_u16 v1, v220, v1
	v_and_b32_e32 v15, 0xff, v1
	v_lshlrev_b32_e32 v1, 5, v15
	v_add_lshl_u32 v32, v14, v15, 4
	s_clause 0x1
	global_load_dwordx4 v[100:103], v1, s[2:3] offset:624
	global_load_dwordx4 v[104:107], v1, s[2:3] offset:640
	s_waitcnt vmcnt(1) lgkmcnt(9)
	v_mul_f64 v[4:5], v[122:123], v[102:103]
	v_fma_f64 v[20:21], v[120:121], v[100:101], -v[4:5]
	v_mul_f64 v[4:5], v[120:121], v[102:103]
	v_fma_f64 v[16:17], v[122:123], v[100:101], v[4:5]
	s_waitcnt vmcnt(0) lgkmcnt(7)
	v_mul_f64 v[4:5], v[118:119], v[106:107]
	v_fma_f64 v[22:23], v[116:117], v[104:105], -v[4:5]
	v_mul_f64 v[4:5], v[116:117], v[106:107]
	v_add_f64 v[24:25], v[20:21], v[22:23]
	v_fma_f64 v[18:19], v[118:119], v[104:105], v[4:5]
	v_mov_b32_e32 v4, 0x4ec5
	v_mul_u32_u24_sdwa v1, v0, v4 dst_sel:DWORD dst_unused:UNUSED_PAD src0_sel:WORD_0 src1_sel:DWORD
	v_lshrrev_b32_e32 v12, 20, v1
	v_mul_lo_u16 v1, v12, 52
	v_sub_nc_u16 v13, v0, v1
	v_add_f64 v[26:27], v[16:17], v[18:19]
	v_fma_f64 v[24:25], v[24:25], -0.5, v[168:169]
	v_lshlrev_b16 v0, 5, v13
	v_mad_u16 v13, 0x9c, v12, v13
	v_mov_b32_e32 v12, 4
	v_and_b32_e32 v0, 0xffff, v0
	v_lshlrev_b32_sdwa v13, v12, v13 dst_sel:DWORD dst_unused:UNUSED_PAD src0_sel:DWORD src1_sel:WORD_0
	v_add_co_u32 v0, s1, s2, v0
	v_add_co_ci_u32_e64 v1, null, s3, 0, s1
	s_clause 0x1
	global_load_dwordx4 v[116:119], v[0:1], off offset:624
	global_load_dwordx4 v[120:123], v[0:1], off offset:640
	v_fma_f64 v[26:27], v[26:27], -0.5, v[170:171]
	s_waitcnt vmcnt(1)
	v_mul_f64 v[0:1], v[130:131], v[118:119]
	v_fma_f64 v[30:31], v[128:129], v[116:117], -v[0:1]
	v_mul_f64 v[0:1], v[128:129], v[118:119]
	v_fma_f64 v[172:173], v[130:131], v[116:117], v[0:1]
	s_waitcnt vmcnt(0) lgkmcnt(6)
	v_mul_f64 v[0:1], v[126:127], v[122:123]
	v_fma_f64 v[174:175], v[124:125], v[120:121], -v[0:1]
	v_mul_f64 v[0:1], v[124:125], v[122:123]
	v_add_f64 v[14:15], v[30:31], v[174:175]
	v_fma_f64 v[176:177], v[126:127], v[120:121], v[0:1]
	v_mul_u32_u24_sdwa v0, v2, v4 dst_sel:DWORD dst_unused:UNUSED_PAD src0_sel:WORD_0 src1_sel:DWORD
	v_lshrrev_b32_e32 v10, 20, v0
	v_mul_lo_u16 v0, v10, 52
	v_sub_nc_u16 v11, v2, v0
	v_lshlrev_b16 v0, 5, v11
	v_mad_u16 v10, 0x9c, v10, v11
	v_and_b32_e32 v0, 0xffff, v0
	v_lshlrev_b32_sdwa v10, v12, v10 dst_sel:DWORD dst_unused:UNUSED_PAD src0_sel:DWORD src1_sel:WORD_0
	v_add_co_u32 v0, s1, s2, v0
	v_add_co_ci_u32_e64 v1, null, s3, 0, s1
	s_clause 0x1
	global_load_dwordx4 v[124:127], v[0:1], off offset:624
	global_load_dwordx4 v[128:131], v[0:1], off offset:640
	s_waitcnt vmcnt(1) lgkmcnt(3)
	v_mul_f64 v[0:1], v[138:139], v[126:127]
	v_fma_f64 v[178:179], v[136:137], v[124:125], -v[0:1]
	v_mul_f64 v[0:1], v[136:137], v[126:127]
	v_fma_f64 v[180:181], v[138:139], v[124:125], v[0:1]
	s_waitcnt vmcnt(0) lgkmcnt(1)
	v_mul_f64 v[0:1], v[134:135], v[130:131]
	v_fma_f64 v[182:183], v[132:133], v[128:129], -v[0:1]
	v_mul_f64 v[0:1], v[132:133], v[130:131]
	v_fma_f64 v[184:185], v[134:135], v[128:129], v[0:1]
	v_mul_u32_u24_sdwa v0, v3, v4 dst_sel:DWORD dst_unused:UNUSED_PAD src0_sel:WORD_0 src1_sel:DWORD
	v_lshrrev_b32_e32 v8, 20, v0
	v_mul_lo_u16 v0, v8, 52
	v_sub_nc_u16 v9, v3, v0
	v_lshlrev_b16 v0, 5, v9
	v_mad_u16 v8, 0x9c, v8, v9
	v_and_b32_e32 v0, 0xffff, v0
	v_lshlrev_b32_sdwa v8, v12, v8 dst_sel:DWORD dst_unused:UNUSED_PAD src0_sel:DWORD src1_sel:WORD_0
	v_add_co_u32 v0, s1, s2, v0
	v_add_co_ci_u32_e64 v1, null, s3, 0, s1
	s_clause 0x1
	global_load_dwordx4 v[132:135], v[0:1], off offset:624
	global_load_dwordx4 v[136:139], v[0:1], off offset:640
	s_waitcnt vmcnt(1)
	v_mul_f64 v[0:1], v[114:115], v[134:135]
	v_fma_f64 v[186:187], v[112:113], v[132:133], -v[0:1]
	v_mul_f64 v[0:1], v[112:113], v[134:135]
	v_fma_f64 v[188:189], v[114:115], v[132:133], v[0:1]
	s_waitcnt vmcnt(0) lgkmcnt(0)
	v_mul_f64 v[0:1], v[110:111], v[138:139]
	v_fma_f64 v[190:191], v[108:109], v[136:137], -v[0:1]
	v_mul_f64 v[0:1], v[108:109], v[138:139]
	v_fma_f64 v[192:193], v[110:111], v[136:137], v[0:1]
	v_add_nc_u32_e32 v0, 0x270, v220
	v_mul_u32_u24_sdwa v1, v0, v4 dst_sel:DWORD dst_unused:UNUSED_PAD src0_sel:WORD_0 src1_sel:DWORD
	v_lshrrev_b32_e32 v1, 20, v1
	v_mul_lo_u16 v1, v1, 52
	v_sub_nc_u16 v0, v0, v1
	buffer_store_dword v0, off, s[48:51], 0 offset:228 ; 4-byte Folded Spill
	v_lshlrev_b16 v0, 5, v0
	v_and_b32_e32 v0, 0xffff, v0
	v_add_co_u32 v0, s1, s2, v0
	v_add_co_ci_u32_e64 v1, null, s3, 0, s1
	s_clause 0x1
	global_load_dwordx4 v[108:111], v[0:1], off offset:624
	global_load_dwordx4 v[112:115], v[0:1], off offset:640
	s_waitcnt vmcnt(0)
	s_waitcnt_vscnt null, 0x0
	s_barrier
	buffer_gl0_inv
	buffer_store_dword v32, off, s[48:51], 0 offset:244 ; 4-byte Folded Spill
	v_mul_f64 v[2:3], v[164:165], v[110:111]
	v_mul_f64 v[4:5], v[160:161], v[114:115]
	;; [unrolled: 1-line block ×3, first 2 shown]
	v_fma_f64 v[6:7], v[166:167], v[108:109], v[2:3]
	v_mul_f64 v[2:3], v[162:163], v[114:115]
	v_fma_f64 v[4:5], v[162:163], v[112:113], v[4:5]
	v_add_f64 v[162:163], v[168:169], v[20:21]
	v_fma_f64 v[0:1], v[164:165], v[108:109], -v[0:1]
	v_add_f64 v[164:165], v[16:17], -v[18:19]
	v_add_f64 v[166:167], v[180:181], -v[184:185]
	v_fma_f64 v[2:3], v[160:161], v[112:113], -v[2:3]
	v_add_f64 v[160:161], v[170:171], v[16:17]
	v_add_f64 v[16:17], v[162:163], v[22:23]
	v_add_f64 v[170:171], v[178:179], -v[182:183]
	v_add_f64 v[18:19], v[160:161], v[18:19]
	v_add_f64 v[160:161], v[20:21], -v[22:23]
	v_fma_f64 v[20:21], v[164:165], s[6:7], v[24:25]
	v_fma_f64 v[24:25], v[164:165], s[12:13], v[24:25]
	ds_write_b128 v32, v[16:19]
	v_fma_f64 v[18:19], v[14:15], -0.5, v[156:157]
	v_add_f64 v[14:15], v[172:173], v[176:177]
	v_add_f64 v[156:157], v[156:157], v[30:31]
	v_fma_f64 v[22:23], v[160:161], s[12:13], v[26:27]
	v_fma_f64 v[26:27], v[160:161], s[6:7], v[26:27]
	v_add_f64 v[30:31], v[30:31], -v[174:175]
	v_fma_f64 v[162:163], v[14:15], -0.5, v[158:159]
	v_add_f64 v[14:15], v[158:159], v[172:173]
	v_add_f64 v[158:159], v[172:173], -v[176:177]
	ds_write_b128 v32, v[20:23] offset:832
	ds_write_b128 v32, v[24:27] offset:1664
	v_add_f64 v[16:17], v[14:15], v[176:177]
	v_add_f64 v[14:15], v[156:157], v[174:175]
	v_fma_f64 v[156:157], v[158:159], s[6:7], v[18:19]
	v_fma_f64 v[160:161], v[158:159], s[12:13], v[18:19]
	v_add_f64 v[18:19], v[178:179], v[182:183]
	v_fma_f64 v[158:159], v[30:31], s[12:13], v[162:163]
	v_fma_f64 v[162:163], v[30:31], s[6:7], v[162:163]
	v_add_f64 v[30:31], v[180:181], v[184:185]
	v_add_f64 v[174:175], v[188:189], -v[192:193]
	ds_write_b128 v13, v[14:17]
	ds_write_b128 v13, v[156:159] offset:832
	v_fma_f64 v[18:19], v[18:19], -0.5, v[152:153]
	v_add_f64 v[152:153], v[152:153], v[178:179]
	v_fma_f64 v[30:31], v[30:31], -0.5, v[154:155]
	v_add_f64 v[178:179], v[186:187], -v[190:191]
	v_add_f64 v[154:155], v[154:155], v[180:181]
	v_add_f64 v[180:181], v[6:7], -v[4:5]
	buffer_store_dword v13, off, s[48:51], 0 offset:248 ; 4-byte Folded Spill
	ds_write_b128 v13, v[160:163] offset:1664
	v_fma_f64 v[164:165], v[166:167], s[6:7], v[18:19]
	v_fma_f64 v[168:169], v[166:167], s[12:13], v[18:19]
	v_add_f64 v[18:19], v[186:187], v[190:191]
	v_fma_f64 v[166:167], v[170:171], s[12:13], v[30:31]
	v_fma_f64 v[170:171], v[170:171], s[6:7], v[30:31]
	v_add_f64 v[30:31], v[188:189], v[192:193]
	v_add_f64 v[154:155], v[154:155], v[184:185]
	;; [unrolled: 1-line block ×3, first 2 shown]
	ds_write_b128 v10, v[152:155]
	ds_write_b128 v10, v[164:167] offset:832
	v_fma_f64 v[18:19], v[18:19], -0.5, v[148:149]
	v_fma_f64 v[30:31], v[30:31], -0.5, v[150:151]
	v_add_f64 v[150:151], v[150:151], v[188:189]
	v_add_f64 v[148:149], v[148:149], v[186:187]
	buffer_store_dword v10, off, s[48:51], 0 offset:252 ; 4-byte Folded Spill
	ds_write_b128 v10, v[168:171] offset:1664
	v_fma_f64 v[172:173], v[174:175], s[6:7], v[18:19]
	v_fma_f64 v[176:177], v[174:175], s[12:13], v[18:19]
	v_add_f64 v[18:19], v[0:1], v[2:3]
	v_fma_f64 v[174:175], v[178:179], s[12:13], v[30:31]
	v_fma_f64 v[178:179], v[178:179], s[6:7], v[30:31]
	v_add_f64 v[30:31], v[6:7], v[4:5]
	v_add_f64 v[150:151], v[150:151], v[192:193]
	;; [unrolled: 1-line block ×3, first 2 shown]
	ds_write_b128 v8, v[148:151]
	ds_write_b128 v8, v[172:175] offset:832
	v_fma_f64 v[18:19], v[18:19], -0.5, v[144:145]
	v_fma_f64 v[30:31], v[30:31], -0.5, v[146:147]
	buffer_store_dword v8, off, s[48:51], 0 offset:256 ; 4-byte Folded Spill
	ds_write_b128 v8, v[176:179] offset:1664
	v_fma_f64 v[192:193], v[180:181], s[6:7], v[18:19]
	v_fma_f64 v[196:197], v[180:181], s[12:13], v[18:19]
	v_add_f64 v[18:19], v[0:1], -v[2:3]
	v_fma_f64 v[194:195], v[18:19], s[12:13], v[30:31]
	v_fma_f64 v[198:199], v[18:19], s[6:7], v[30:31]
	s_and_saveexec_b32 s1, s0
	s_cbranch_execz .LBB0_9
; %bb.8:
	v_add_f64 v[0:1], v[144:145], v[0:1]
	v_add_f64 v[6:7], v[146:147], v[6:7]
	;; [unrolled: 1-line block ×3, first 2 shown]
	buffer_load_dword v0, off, s[48:51], 0 offset:228 ; 4-byte Folded Reload
	v_add_f64 v[4:5], v[6:7], v[4:5]
	s_waitcnt vmcnt(0)
	v_lshlrev_b32_sdwa v0, v12, v0 dst_sel:DWORD dst_unused:UNUSED_PAD src0_sel:DWORD src1_sel:WORD_0
	ds_write_b128 v0, v[192:195] offset:30784
	ds_write_b128 v0, v[2:5] offset:29952
	;; [unrolled: 1-line block ×3, first 2 shown]
.LBB0_9:
	s_or_b32 exec_lo, exec_lo, s1
	v_mad_u64_u32 v[10:11], null, 0xc0, v220, s[2:3]
	s_waitcnt lgkmcnt(0)
	s_waitcnt_vscnt null, 0x0
	s_barrier
	buffer_gl0_inv
	ds_read_b128 v[204:207], v255
	ds_read_b128 v[0:3], v255 offset:2496
	ds_read_b128 v[4:7], v255 offset:4992
	;; [unrolled: 1-line block ×12, first 2 shown]
	buffer_store_dword v220, off, s[48:51], 0 offset:8 ; 4-byte Folded Spill
	s_mov_b32 s24, 0x4267c47c
	v_add_co_u32 v8, s1, 0x8f0, v10
	v_add_co_ci_u32_e64 v9, s1, 0, v11, s1
	v_add_co_u32 v188, s1, 0x800, v10
	v_add_co_ci_u32_e64 v189, s1, 0, v11, s1
	s_mov_b32 s18, 0x42a4c3d2
	s_mov_b32 s6, 0x66966769
	s_clause 0x3
	global_load_dwordx4 v[172:175], v[188:189], off offset:240
	global_load_dwordx4 v[144:147], v[8:9], off offset:48
	global_load_dwordx4 v[148:151], v[8:9], off offset:32
	global_load_dwordx4 v[152:155], v[8:9], off offset:16
	s_mov_b32 s12, 0x2ef20147
	s_mov_b32 s26, 0x24c2f84
	;; [unrolled: 1-line block ×29, first 2 shown]
	s_waitcnt vmcnt(3) lgkmcnt(11)
	v_mul_f64 v[8:9], v[2:3], v[174:175]
	v_fma_f64 v[234:235], v[0:1], v[172:173], -v[8:9]
	v_mul_f64 v[0:1], v[0:1], v[174:175]
	v_fma_f64 v[236:237], v[2:3], v[172:173], v[0:1]
	s_waitcnt vmcnt(0) lgkmcnt(10)
	v_mul_f64 v[0:1], v[6:7], v[154:155]
	v_fma_f64 v[14:15], v[4:5], v[152:153], -v[0:1]
	v_mul_f64 v[0:1], v[4:5], v[154:155]
	v_fma_f64 v[12:13], v[6:7], v[152:153], v[0:1]
	s_waitcnt lgkmcnt(9)
	v_mul_f64 v[0:1], v[18:19], v[150:151]
	v_fma_f64 v[8:9], v[16:17], v[148:149], -v[0:1]
	v_mul_f64 v[0:1], v[16:17], v[150:151]
	v_fma_f64 v[232:233], v[18:19], v[148:149], v[0:1]
	s_waitcnt lgkmcnt(8)
	v_mul_f64 v[0:1], v[22:23], v[146:147]
	v_fma_f64 v[6:7], v[20:21], v[144:145], -v[0:1]
	v_mul_f64 v[0:1], v[20:21], v[146:147]
	v_add_f64 v[20:21], v[204:205], v[234:235]
	v_fma_f64 v[4:5], v[22:23], v[144:145], v[0:1]
	v_add_co_u32 v0, s1, 0x930, v10
	v_add_co_ci_u32_e64 v1, s1, 0, v11, s1
	s_clause 0x3
	global_load_dwordx4 v[164:167], v[188:189], off offset:304
	global_load_dwordx4 v[156:159], v[0:1], off offset:48
	;; [unrolled: 1-line block ×4, first 2 shown]
	v_add_co_u32 v10, s1, 0x970, v10
	v_add_co_ci_u32_e64 v11, s1, 0, v11, s1
	v_add_f64 v[22:23], v[206:207], v[236:237]
	v_add_f64 v[20:21], v[20:21], v[14:15]
	;; [unrolled: 1-line block ×7, first 2 shown]
	s_waitcnt vmcnt(3) lgkmcnt(7)
	v_mul_f64 v[2:3], v[24:25], v[166:167]
	s_waitcnt vmcnt(2) lgkmcnt(4)
	v_mul_f64 v[16:17], v[184:185], v[158:159]
	v_mul_f64 v[0:1], v[26:27], v[166:167]
	v_fma_f64 v[228:229], v[26:27], v[164:165], v[2:3]
	s_waitcnt vmcnt(0)
	v_mul_f64 v[2:3], v[178:179], v[170:171]
	v_fma_f64 v[230:231], v[186:187], v[156:157], v[16:17]
	v_fma_f64 v[0:1], v[24:25], v[164:165], -v[0:1]
	v_add_f64 v[22:23], v[22:23], v[228:229]
	v_fma_f64 v[224:225], v[176:177], v[168:169], -v[2:3]
	v_mul_f64 v[2:3], v[176:177], v[170:171]
	v_add_f64 v[20:21], v[20:21], v[0:1]
	v_fma_f64 v[220:221], v[178:179], v[168:169], v[2:3]
	v_mul_f64 v[2:3], v[182:183], v[162:163]
	v_add_f64 v[20:21], v[20:21], v[224:225]
	v_add_f64 v[22:23], v[22:23], v[220:221]
	v_fma_f64 v[226:227], v[180:181], v[160:161], -v[2:3]
	v_mul_f64 v[2:3], v[180:181], v[162:163]
	v_add_f64 v[20:21], v[20:21], v[226:227]
	v_fma_f64 v[222:223], v[182:183], v[160:161], v[2:3]
	v_mul_f64 v[2:3], v[186:187], v[158:159]
	v_add_f64 v[22:23], v[22:23], v[222:223]
	v_fma_f64 v[2:3], v[184:185], v[156:157], -v[2:3]
	s_clause 0x3
	global_load_dwordx4 v[176:179], v[188:189], off offset:368
	global_load_dwordx4 v[184:187], v[10:11], off offset:48
	;; [unrolled: 1-line block ×4, first 2 shown]
	v_add_f64 v[22:23], v[22:23], v[230:231]
	v_add_f64 v[20:21], v[20:21], v[2:3]
	s_waitcnt vmcnt(3) lgkmcnt(3)
	v_mul_f64 v[10:11], v[218:219], v[178:179]
	v_mul_f64 v[16:17], v[216:217], v[178:179]
	s_waitcnt vmcnt(2) lgkmcnt(0)
	v_mul_f64 v[18:19], v[200:201], v[186:187]
	v_fma_f64 v[10:11], v[216:217], v[176:177], -v[10:11]
	v_fma_f64 v[216:217], v[218:219], v[176:177], v[16:17]
	s_waitcnt vmcnt(0)
	v_mul_f64 v[16:17], v[214:215], v[190:191]
	v_fma_f64 v[18:19], v[202:203], v[184:185], v[18:19]
	v_add_f64 v[20:21], v[20:21], v[10:11]
	v_add_f64 v[22:23], v[22:23], v[216:217]
	v_fma_f64 v[218:219], v[212:213], v[188:189], -v[16:17]
	v_mul_f64 v[16:17], v[212:213], v[190:191]
	v_add_f64 v[20:21], v[20:21], v[218:219]
	v_fma_f64 v[212:213], v[214:215], v[188:189], v[16:17]
	v_mul_f64 v[16:17], v[210:211], v[182:183]
	v_add_f64 v[22:23], v[22:23], v[212:213]
	v_fma_f64 v[214:215], v[208:209], v[180:181], -v[16:17]
	v_mul_f64 v[16:17], v[208:209], v[182:183]
	v_add_f64 v[20:21], v[20:21], v[214:215]
	v_fma_f64 v[208:209], v[210:211], v[180:181], v[16:17]
	v_mul_f64 v[16:17], v[202:203], v[186:187]
	v_add_f64 v[22:23], v[22:23], v[208:209]
	v_fma_f64 v[16:17], v[200:201], v[184:185], -v[16:17]
	v_add_f64 v[202:203], v[22:23], v[18:19]
	v_add_f64 v[200:201], v[20:21], v[16:17]
	;; [unrolled: 1-line block ×4, first 2 shown]
	v_add_f64 v[16:17], v[234:235], -v[16:17]
	v_add_f64 v[18:19], v[236:237], -v[18:19]
	v_mul_f64 v[210:211], v[16:17], s[24:25]
	v_mul_f64 v[24:25], v[18:19], s[24:25]
	v_mul_f64 v[236:237], v[18:19], s[18:19]
	v_mul_f64 v[240:241], v[16:17], s[18:19]
	v_mul_f64 v[244:245], v[18:19], s[6:7]
	v_mul_f64 v[248:249], v[16:17], s[6:7]
	v_mul_f64 v[253:254], v[18:19], s[12:13]
	v_mul_f64 v[32:33], v[16:17], s[12:13]
	v_mul_f64 v[36:37], v[18:19], s[26:27]
	v_mul_f64 v[40:41], v[16:17], s[26:27]
	v_mul_f64 v[18:19], v[18:19], s[30:31]
	v_mul_f64 v[16:17], v[16:17], s[30:31]
	v_fma_f64 v[234:235], v[22:23], s[22:23], v[210:211]
	v_fma_f64 v[26:27], v[20:21], s[22:23], -v[24:25]
	v_fma_f64 v[24:25], v[20:21], s[22:23], v[24:25]
	v_fma_f64 v[210:211], v[22:23], s[22:23], -v[210:211]
	v_fma_f64 v[238:239], v[20:21], s[16:17], -v[236:237]
	v_fma_f64 v[242:243], v[22:23], s[16:17], v[240:241]
	v_fma_f64 v[236:237], v[20:21], s[16:17], v[236:237]
	v_fma_f64 v[240:241], v[22:23], s[16:17], -v[240:241]
	v_fma_f64 v[246:247], v[20:21], s[2:3], -v[244:245]
	v_fma_f64 v[250:251], v[22:23], s[2:3], v[248:249]
	v_fma_f64 v[244:245], v[20:21], s[2:3], v[244:245]
	v_fma_f64 v[248:249], v[22:23], s[2:3], -v[248:249]
	v_fma_f64 v[30:31], v[20:21], s[14:15], -v[253:254]
	v_fma_f64 v[34:35], v[22:23], s[14:15], v[32:33]
	v_fma_f64 v[253:254], v[20:21], s[14:15], v[253:254]
	v_fma_f64 v[32:33], v[22:23], s[14:15], -v[32:33]
	v_fma_f64 v[38:39], v[20:21], s[28:29], -v[36:37]
	v_fma_f64 v[42:43], v[22:23], s[28:29], v[40:41]
	v_fma_f64 v[36:37], v[20:21], s[28:29], v[36:37]
	v_fma_f64 v[40:41], v[22:23], s[28:29], -v[40:41]
	v_fma_f64 v[44:45], v[20:21], s[34:35], -v[18:19]
	v_fma_f64 v[46:47], v[22:23], s[34:35], v[16:17]
	v_fma_f64 v[18:19], v[20:21], s[34:35], v[18:19]
	v_fma_f64 v[16:17], v[22:23], s[34:35], -v[16:17]
	v_add_f64 v[22:23], v[12:13], v[208:209]
	v_add_f64 v[12:13], v[12:13], -v[208:209]
	v_add_f64 v[26:27], v[204:205], v[26:27]
	v_add_f64 v[24:25], v[204:205], v[24:25]
	;; [unrolled: 1-line block ×21, first 2 shown]
	v_mul_f64 v[204:205], v[12:13], s[18:19]
	v_add_f64 v[42:43], v[206:207], v[42:43]
	v_add_f64 v[40:41], v[206:207], v[40:41]
	;; [unrolled: 1-line block ×4, first 2 shown]
	v_add_f64 v[14:15], v[14:15], -v[214:215]
	v_fma_f64 v[206:207], v[20:21], s[16:17], -v[204:205]
	v_fma_f64 v[204:205], v[20:21], s[16:17], v[204:205]
	v_mul_f64 v[214:215], v[14:15], s[12:13]
	v_add_f64 v[26:27], v[206:207], v[26:27]
	v_mul_f64 v[206:207], v[14:15], s[18:19]
	v_add_f64 v[24:25], v[204:205], v[24:25]
	v_fma_f64 v[208:209], v[22:23], s[16:17], v[206:207]
	v_fma_f64 v[204:205], v[22:23], s[16:17], -v[206:207]
	v_mul_f64 v[206:207], v[12:13], s[12:13]
	v_add_f64 v[208:209], v[208:209], v[234:235]
	v_add_f64 v[204:205], v[204:205], v[210:211]
	v_fma_f64 v[210:211], v[20:21], s[14:15], -v[206:207]
	v_fma_f64 v[206:207], v[20:21], s[14:15], v[206:207]
	v_fma_f64 v[234:235], v[22:23], s[14:15], v[214:215]
	v_fma_f64 v[214:215], v[22:23], s[14:15], -v[214:215]
	v_add_f64 v[210:211], v[210:211], v[238:239]
	v_add_f64 v[206:207], v[206:207], v[236:237]
	v_mul_f64 v[236:237], v[12:13], s[30:31]
	v_add_f64 v[214:215], v[214:215], v[240:241]
	v_mul_f64 v[240:241], v[14:15], s[30:31]
	v_add_f64 v[234:235], v[234:235], v[242:243]
	v_fma_f64 v[238:239], v[20:21], s[34:35], -v[236:237]
	v_fma_f64 v[236:237], v[20:21], s[34:35], v[236:237]
	v_fma_f64 v[242:243], v[22:23], s[34:35], v[240:241]
	v_fma_f64 v[240:241], v[22:23], s[34:35], -v[240:241]
	v_add_f64 v[238:239], v[238:239], v[246:247]
	v_add_f64 v[236:237], v[236:237], v[244:245]
	v_mul_f64 v[244:245], v[12:13], s[36:37]
	v_add_f64 v[240:241], v[240:241], v[248:249]
	v_add_f64 v[242:243], v[242:243], v[250:251]
	v_fma_f64 v[246:247], v[20:21], s[28:29], -v[244:245]
	v_fma_f64 v[244:245], v[20:21], s[28:29], v[244:245]
	v_add_f64 v[30:31], v[246:247], v[30:31]
	v_mul_f64 v[246:247], v[14:15], s[36:37]
	v_add_f64 v[244:245], v[244:245], v[253:254]
	v_fma_f64 v[248:249], v[22:23], s[28:29], v[246:247]
	v_fma_f64 v[246:247], v[22:23], s[28:29], -v[246:247]
	v_add_f64 v[34:35], v[248:249], v[34:35]
	v_add_f64 v[32:33], v[246:247], v[32:33]
	v_mul_f64 v[246:247], v[12:13], s[20:21]
	v_mul_f64 v[12:13], v[12:13], s[40:41]
	v_fma_f64 v[248:249], v[20:21], s[2:3], -v[246:247]
	v_fma_f64 v[246:247], v[20:21], s[2:3], v[246:247]
	v_add_f64 v[38:39], v[248:249], v[38:39]
	v_mul_f64 v[248:249], v[14:15], s[20:21]
	v_add_f64 v[36:37], v[246:247], v[36:37]
	v_mul_f64 v[14:15], v[14:15], s[40:41]
	v_fma_f64 v[246:247], v[22:23], s[2:3], -v[248:249]
	v_fma_f64 v[250:251], v[22:23], s[2:3], v[248:249]
	v_add_f64 v[40:41], v[246:247], v[40:41]
	v_fma_f64 v[246:247], v[20:21], s[22:23], -v[12:13]
	v_fma_f64 v[12:13], v[20:21], s[22:23], v[12:13]
	v_add_f64 v[20:21], v[232:233], -v[212:213]
	v_add_f64 v[42:43], v[250:251], v[42:43]
	v_add_f64 v[250:251], v[4:5], -v[216:217]
	v_add_f64 v[44:45], v[246:247], v[44:45]
	v_fma_f64 v[246:247], v[22:23], s[22:23], v[14:15]
	v_fma_f64 v[14:15], v[22:23], s[22:23], -v[14:15]
	v_mul_f64 v[22:23], v[20:21], s[6:7]
	v_add_f64 v[12:13], v[12:13], v[18:19]
	v_add_f64 v[18:19], v[232:233], v[212:213]
	;; [unrolled: 1-line block ×5, first 2 shown]
	v_add_f64 v[8:9], v[8:9], -v[218:219]
	v_fma_f64 v[212:213], v[16:17], s[2:3], -v[22:23]
	v_fma_f64 v[22:23], v[16:17], s[2:3], v[22:23]
	v_mul_f64 v[232:233], v[8:9], s[38:39]
	v_add_f64 v[26:27], v[212:213], v[26:27]
	v_mul_f64 v[212:213], v[8:9], s[6:7]
	v_add_f64 v[22:23], v[22:23], v[24:25]
	v_fma_f64 v[24:25], v[18:19], s[2:3], -v[212:213]
	v_fma_f64 v[218:219], v[18:19], s[2:3], v[212:213]
	v_add_f64 v[24:25], v[24:25], v[204:205]
	v_mul_f64 v[204:205], v[20:21], s[30:31]
	v_add_f64 v[208:209], v[218:219], v[208:209]
	v_fma_f64 v[212:213], v[16:17], s[34:35], -v[204:205]
	v_fma_f64 v[204:205], v[16:17], s[34:35], v[204:205]
	v_add_f64 v[210:211], v[212:213], v[210:211]
	v_mul_f64 v[212:213], v[8:9], s[30:31]
	v_add_f64 v[204:205], v[204:205], v[206:207]
	v_fma_f64 v[218:219], v[18:19], s[34:35], v[212:213]
	v_fma_f64 v[206:207], v[18:19], s[34:35], -v[212:213]
	v_mul_f64 v[212:213], v[20:21], s[38:39]
	v_add_f64 v[218:219], v[218:219], v[234:235]
	v_add_f64 v[206:207], v[206:207], v[214:215]
	v_fma_f64 v[214:215], v[16:17], s[14:15], -v[212:213]
	v_fma_f64 v[212:213], v[16:17], s[14:15], v[212:213]
	v_fma_f64 v[234:235], v[18:19], s[14:15], v[232:233]
	v_fma_f64 v[232:233], v[18:19], s[14:15], -v[232:233]
	v_add_f64 v[214:215], v[214:215], v[238:239]
	v_add_f64 v[212:213], v[212:213], v[236:237]
	v_mul_f64 v[236:237], v[20:21], s[40:41]
	v_add_f64 v[232:233], v[232:233], v[240:241]
	v_add_f64 v[234:235], v[234:235], v[242:243]
	v_fma_f64 v[238:239], v[16:17], s[22:23], -v[236:237]
	v_fma_f64 v[236:237], v[16:17], s[22:23], v[236:237]
	v_add_f64 v[30:31], v[238:239], v[30:31]
	v_mul_f64 v[238:239], v[8:9], s[40:41]
	v_add_f64 v[236:237], v[236:237], v[244:245]
	v_fma_f64 v[240:241], v[18:19], s[22:23], v[238:239]
	v_fma_f64 v[238:239], v[18:19], s[22:23], -v[238:239]
	v_add_f64 v[34:35], v[240:241], v[34:35]
	v_add_f64 v[32:33], v[238:239], v[32:33]
	v_mul_f64 v[238:239], v[20:21], s[18:19]
	v_mul_f64 v[20:21], v[20:21], s[26:27]
	v_fma_f64 v[240:241], v[16:17], s[16:17], -v[238:239]
	v_fma_f64 v[238:239], v[16:17], s[16:17], v[238:239]
	v_add_f64 v[38:39], v[240:241], v[38:39]
	v_mul_f64 v[240:241], v[8:9], s[18:19]
	v_add_f64 v[36:37], v[238:239], v[36:37]
	v_mul_f64 v[8:9], v[8:9], s[26:27]
	v_fma_f64 v[238:239], v[18:19], s[16:17], -v[240:241]
	v_fma_f64 v[242:243], v[18:19], s[16:17], v[240:241]
	v_add_f64 v[240:241], v[6:7], -v[10:11]
	v_add_f64 v[40:41], v[238:239], v[40:41]
	v_fma_f64 v[238:239], v[16:17], s[28:29], -v[20:21]
	v_fma_f64 v[16:17], v[16:17], s[28:29], v[20:21]
	v_add_f64 v[20:21], v[6:7], v[10:11]
	v_mul_f64 v[10:11], v[240:241], s[12:13]
	v_add_f64 v[42:43], v[242:243], v[42:43]
	v_add_f64 v[44:45], v[238:239], v[44:45]
	v_fma_f64 v[238:239], v[18:19], s[28:29], v[8:9]
	v_fma_f64 v[8:9], v[18:19], s[28:29], -v[8:9]
	v_add_f64 v[16:17], v[16:17], v[12:13]
	v_add_f64 v[46:47], v[238:239], v[46:47]
	;; [unrolled: 1-line block ×3, first 2 shown]
	v_mul_f64 v[8:9], v[250:251], s[12:13]
	v_add_f64 v[238:239], v[4:5], v[216:217]
	v_fma_f64 v[4:5], v[20:21], s[14:15], -v[8:9]
	v_fma_f64 v[8:9], v[20:21], s[14:15], v[8:9]
	v_fma_f64 v[6:7], v[238:239], s[14:15], v[10:11]
	v_fma_f64 v[10:11], v[238:239], s[14:15], -v[10:11]
	v_add_f64 v[4:5], v[4:5], v[26:27]
	v_add_f64 v[8:9], v[8:9], v[22:23]
	v_mul_f64 v[22:23], v[250:251], s[36:37]
	v_add_f64 v[10:11], v[10:11], v[24:25]
	v_mul_f64 v[24:25], v[240:241], s[36:37]
	v_add_f64 v[6:7], v[6:7], v[208:209]
	v_fma_f64 v[12:13], v[20:21], s[28:29], -v[22:23]
	v_fma_f64 v[22:23], v[20:21], s[28:29], v[22:23]
	v_fma_f64 v[14:15], v[238:239], s[28:29], v[24:25]
	v_add_f64 v[12:13], v[12:13], v[210:211]
	v_add_f64 v[204:205], v[22:23], v[204:205]
	v_fma_f64 v[22:23], v[238:239], s[28:29], -v[24:25]
	v_add_f64 v[14:15], v[14:15], v[218:219]
	v_add_f64 v[206:207], v[22:23], v[206:207]
	v_mul_f64 v[22:23], v[250:251], s[40:41]
	v_fma_f64 v[24:25], v[20:21], s[22:23], -v[22:23]
	v_fma_f64 v[22:23], v[20:21], s[22:23], v[22:23]
	v_add_f64 v[208:209], v[24:25], v[214:215]
	v_mul_f64 v[24:25], v[240:241], s[40:41]
	v_add_f64 v[212:213], v[22:23], v[212:213]
	v_fma_f64 v[22:23], v[238:239], s[22:23], -v[24:25]
	v_fma_f64 v[26:27], v[238:239], s[22:23], v[24:25]
	v_add_f64 v[214:215], v[22:23], v[232:233]
	v_mul_f64 v[22:23], v[250:251], s[6:7]
	v_add_f64 v[210:211], v[26:27], v[234:235]
	;; [unrolled: 5-line block ×6, first 2 shown]
	v_fma_f64 v[24:25], v[20:21], s[16:17], -v[22:23]
	v_fma_f64 v[20:21], v[20:21], s[16:17], v[22:23]
	v_add_f64 v[22:23], v[0:1], v[2:3]
	v_add_f64 v[0:1], v[0:1], -v[2:3]
	v_add_f64 v[2:3], v[228:229], -v[230:231]
	v_add_f64 v[250:251], v[24:25], v[44:45]
	v_mul_f64 v[24:25], v[240:241], s[42:43]
	v_add_f64 v[16:17], v[20:21], v[16:17]
	v_fma_f64 v[26:27], v[238:239], s[16:17], v[24:25]
	v_fma_f64 v[20:21], v[238:239], s[16:17], -v[24:25]
	v_mul_f64 v[24:25], v[2:3], s[26:27]
	v_add_f64 v[253:254], v[26:27], v[46:47]
	v_add_f64 v[18:19], v[20:21], v[18:19]
	v_fma_f64 v[26:27], v[22:23], s[28:29], -v[24:25]
	v_add_f64 v[20:21], v[228:229], v[230:231]
	v_add_f64 v[30:31], v[26:27], v[4:5]
	v_mul_f64 v[4:5], v[0:1], s[26:27]
	v_fma_f64 v[26:27], v[20:21], s[28:29], v[4:5]
	v_fma_f64 v[4:5], v[20:21], s[28:29], -v[4:5]
	v_add_f64 v[32:33], v[26:27], v[6:7]
	v_fma_f64 v[6:7], v[22:23], s[28:29], v[24:25]
	v_add_f64 v[36:37], v[4:5], v[10:11]
	v_mul_f64 v[4:5], v[2:3], s[20:21]
	v_add_f64 v[10:11], v[224:225], -v[226:227]
	v_add_f64 v[34:35], v[6:7], v[8:9]
	v_fma_f64 v[6:7], v[22:23], s[2:3], -v[4:5]
	v_fma_f64 v[4:5], v[22:23], s[2:3], v[4:5]
	v_add_f64 v[38:39], v[6:7], v[12:13]
	v_mul_f64 v[6:7], v[0:1], s[20:21]
	v_add_f64 v[42:43], v[4:5], v[204:205]
	v_fma_f64 v[4:5], v[20:21], s[2:3], -v[6:7]
	v_fma_f64 v[8:9], v[20:21], s[2:3], v[6:7]
	v_add_f64 v[44:45], v[4:5], v[206:207]
	v_mul_f64 v[4:5], v[2:3], s[18:19]
	;; [unrolled: 5-line block ×6, first 2 shown]
	v_mul_f64 v[2:3], v[2:3], s[12:13]
	v_add_f64 v[240:241], v[8:9], v[218:219]
	v_fma_f64 v[6:7], v[22:23], s[22:23], -v[4:5]
	v_fma_f64 v[4:5], v[22:23], s[22:23], v[4:5]
	v_add_f64 v[230:231], v[6:7], v[242:243]
	v_mul_f64 v[6:7], v[0:1], s[40:41]
	v_add_f64 v[228:229], v[4:5], v[246:247]
	v_mul_f64 v[0:1], v[0:1], s[12:13]
	v_fma_f64 v[4:5], v[20:21], s[22:23], -v[6:7]
	v_fma_f64 v[8:9], v[20:21], s[22:23], v[6:7]
	v_add_f64 v[6:7], v[224:225], v[226:227]
	v_add_f64 v[14:15], v[4:5], v[248:249]
	v_fma_f64 v[4:5], v[22:23], s[14:15], -v[2:3]
	v_fma_f64 v[2:3], v[22:23], s[14:15], v[2:3]
	v_add_f64 v[232:233], v[8:9], v[244:245]
	v_mul_f64 v[22:23], v[10:11], s[26:27]
	v_add_f64 v[12:13], v[4:5], v[250:251]
	v_fma_f64 v[4:5], v[20:21], s[14:15], v[0:1]
	v_fma_f64 v[0:1], v[20:21], s[14:15], -v[0:1]
	v_add_f64 v[8:9], v[4:5], v[253:254]
	v_add_f64 v[4:5], v[2:3], v[16:17]
	;; [unrolled: 1-line block ×3, first 2 shown]
	v_add_f64 v[220:221], v[220:221], -v[222:223]
	v_add_f64 v[0:1], v[0:1], v[18:19]
	v_mul_f64 v[16:17], v[220:221], s[30:31]
	v_fma_f64 v[18:19], v[6:7], s[34:35], -v[16:17]
	v_fma_f64 v[16:17], v[6:7], s[34:35], v[16:17]
	v_add_f64 v[204:205], v[18:19], v[30:31]
	v_mul_f64 v[18:19], v[10:11], s[30:31]
	v_add_f64 v[208:209], v[16:17], v[34:35]
	v_mul_f64 v[30:31], v[220:221], s[42:43]
	v_fma_f64 v[16:17], v[2:3], s[34:35], -v[18:19]
	v_fma_f64 v[20:21], v[2:3], s[34:35], v[18:19]
	v_add_f64 v[210:211], v[16:17], v[36:37]
	v_mul_f64 v[16:17], v[220:221], s[40:41]
	;; [unrolled: 6-line block ×3, first 2 shown]
	v_add_f64 v[216:217], v[16:17], v[42:43]
	v_fma_f64 v[20:21], v[2:3], s[22:23], v[18:19]
	v_fma_f64 v[16:17], v[2:3], s[22:23], -v[18:19]
	v_fma_f64 v[18:19], v[2:3], s[28:29], v[22:23]
	v_fma_f64 v[22:23], v[2:3], s[28:29], -v[22:23]
	v_add_f64 v[214:215], v[20:21], v[40:41]
	v_mul_f64 v[20:21], v[220:221], s[26:27]
	v_add_f64 v[218:219], v[16:17], v[44:45]
	v_add_f64 v[22:23], v[22:23], v[24:25]
	v_fma_f64 v[24:25], v[6:7], s[16:17], -v[30:31]
	v_fma_f64 v[30:31], v[6:7], s[16:17], v[30:31]
	v_add_f64 v[18:19], v[18:19], v[48:49]
	v_fma_f64 v[16:17], v[6:7], s[28:29], -v[20:21]
	v_fma_f64 v[20:21], v[6:7], s[28:29], v[20:21]
	v_add_f64 v[24:25], v[24:25], v[238:239]
	v_add_f64 v[222:223], v[30:31], v[236:237]
	v_fma_f64 v[30:31], v[2:3], s[16:17], -v[32:33]
	v_add_f64 v[16:17], v[16:17], v[46:47]
	v_add_f64 v[20:21], v[20:21], v[26:27]
	v_fma_f64 v[26:27], v[2:3], s[16:17], v[32:33]
	v_add_f64 v[224:225], v[30:31], v[234:235]
	v_mul_f64 v[30:31], v[220:221], s[12:13]
	v_add_f64 v[26:27], v[26:27], v[240:241]
	v_fma_f64 v[32:33], v[6:7], s[14:15], -v[30:31]
	v_fma_f64 v[30:31], v[6:7], s[14:15], v[30:31]
	v_add_f64 v[230:231], v[32:33], v[230:231]
	v_mul_f64 v[32:33], v[10:11], s[12:13]
	v_add_f64 v[226:227], v[30:31], v[228:229]
	v_mul_f64 v[10:11], v[10:11], s[20:21]
	v_fma_f64 v[30:31], v[2:3], s[14:15], -v[32:33]
	v_fma_f64 v[34:35], v[2:3], s[14:15], v[32:33]
	v_add_f64 v[228:229], v[30:31], v[14:15]
	v_mul_f64 v[30:31], v[220:221], s[20:21]
	v_add_f64 v[232:233], v[34:35], v[232:233]
	v_fma_f64 v[14:15], v[6:7], s[2:3], -v[30:31]
	v_fma_f64 v[6:7], v[6:7], s[2:3], v[30:31]
	v_add_f64 v[12:13], v[14:15], v[12:13]
	v_fma_f64 v[14:15], v[2:3], s[2:3], v[10:11]
	v_fma_f64 v[2:3], v[2:3], s[2:3], -v[10:11]
	v_add_f64 v[4:5], v[6:7], v[4:5]
	v_add_f64 v[14:15], v[14:15], v[8:9]
	;; [unrolled: 1-line block ×3, first 2 shown]
	ds_write_b128 v255, v[200:203]
	ds_write_b128 v255, v[204:207] offset:2496
	ds_write_b128 v255, v[212:215] offset:4992
	;; [unrolled: 1-line block ×12, first 2 shown]
	v_add_co_u32 v4, s1, 0x7800, v28
	v_add_co_ci_u32_e64 v5, s1, 0, v29, s1
	s_waitcnt lgkmcnt(0)
	s_waitcnt_vscnt null, 0x0
	s_barrier
	buffer_gl0_inv
	global_load_dwordx4 v[4:7], v[4:5], off offset:1728
	ds_read_b128 v[0:3], v255
	s_waitcnt vmcnt(0) lgkmcnt(0)
	v_mul_f64 v[8:9], v[2:3], v[6:7]
	v_fma_f64 v[8:9], v[0:1], v[4:5], -v[8:9]
	v_mul_f64 v[0:1], v[0:1], v[6:7]
	v_fma_f64 v[10:11], v[2:3], v[4:5], v[0:1]
	v_add_co_u32 v4, s1, 0x8800, v28
	v_add_co_ci_u32_e64 v5, s1, 0, v29, s1
	ds_read_b128 v[0:3], v255 offset:2496
	global_load_dwordx4 v[4:7], v[4:5], off offset:128
	ds_write_b128 v255, v[8:11]
	s_waitcnt vmcnt(0) lgkmcnt(1)
	v_mul_f64 v[8:9], v[2:3], v[6:7]
	v_fma_f64 v[8:9], v[0:1], v[4:5], -v[8:9]
	v_mul_f64 v[0:1], v[0:1], v[6:7]
	v_fma_f64 v[10:11], v[2:3], v[4:5], v[0:1]
	v_add_co_u32 v4, s1, 0x9000, v28
	v_add_co_ci_u32_e64 v5, s1, 0, v29, s1
	ds_read_b128 v[0:3], v255 offset:4992
	global_load_dwordx4 v[4:7], v[4:5], off offset:576
	ds_write_b128 v255, v[8:11] offset:2496
	s_waitcnt vmcnt(0) lgkmcnt(1)
	v_mul_f64 v[8:9], v[2:3], v[6:7]
	v_fma_f64 v[8:9], v[0:1], v[4:5], -v[8:9]
	v_mul_f64 v[0:1], v[0:1], v[6:7]
	v_fma_f64 v[10:11], v[2:3], v[4:5], v[0:1]
	v_add_co_u32 v4, s1, 0x9800, v28
	v_add_co_ci_u32_e64 v5, s1, 0, v29, s1
	ds_read_b128 v[0:3], v255 offset:7488
	global_load_dwordx4 v[4:7], v[4:5], off offset:1024
	ds_write_b128 v255, v[8:11] offset:4992
	;; [unrolled: 10-line block ×11, first 2 shown]
	s_waitcnt vmcnt(0) lgkmcnt(1)
	v_mul_f64 v[8:9], v[2:3], v[6:7]
	v_fma_f64 v[8:9], v[0:1], v[4:5], -v[8:9]
	v_mul_f64 v[0:1], v[0:1], v[6:7]
	v_fma_f64 v[10:11], v[2:3], v[4:5], v[0:1]
	ds_write_b128 v255, v[8:11] offset:29952
	s_waitcnt lgkmcnt(0)
	s_barrier
	buffer_gl0_inv
	ds_read_b128 v[0:3], v255
	ds_read_b128 v[4:7], v255 offset:2496
	ds_read_b128 v[8:11], v255 offset:4992
	;; [unrolled: 1-line block ×12, first 2 shown]
	s_waitcnt lgkmcnt(0)
	s_barrier
	buffer_gl0_inv
	v_add_f64 v[30:31], v[2:3], v[6:7]
	v_add_f64 v[28:29], v[0:1], v[4:5]
	;; [unrolled: 1-line block ×24, first 2 shown]
	v_add_f64 v[6:7], v[6:7], -v[226:227]
	v_add_f64 v[200:201], v[28:29], v[224:225]
	v_add_f64 v[28:29], v[4:5], v[224:225]
	v_add_f64 v[4:5], v[4:5], -v[224:225]
	v_mul_f64 v[36:37], v[30:31], s[22:23]
	v_mul_f64 v[32:33], v[6:7], s[24:25]
	;; [unrolled: 1-line block ×12, first 2 shown]
	v_fma_f64 v[38:39], v[4:5], s[40:41], v[36:37]
	v_fma_f64 v[34:35], v[28:29], s[22:23], v[32:33]
	v_fma_f64 v[32:33], v[28:29], s[22:23], -v[32:33]
	v_fma_f64 v[42:43], v[28:29], s[16:17], v[40:41]
	v_fma_f64 v[40:41], v[28:29], s[16:17], -v[40:41]
	;; [unrolled: 2-line block ×6, first 2 shown]
	v_fma_f64 v[36:37], v[4:5], s[24:25], v[36:37]
	v_fma_f64 v[46:47], v[4:5], s[42:43], v[44:45]
	;; [unrolled: 1-line block ×10, first 2 shown]
	v_add_f64 v[34:35], v[0:1], v[34:35]
	v_add_f64 v[32:33], v[0:1], v[32:33]
	;; [unrolled: 1-line block ×12, first 2 shown]
	v_fma_f64 v[4:5], v[4:5], s[30:31], v[30:31]
	v_add_f64 v[6:7], v[10:11], v[222:223]
	v_add_f64 v[10:11], v[10:11], -v[222:223]
	v_add_f64 v[38:39], v[2:3], v[38:39]
	v_add_f64 v[36:37], v[2:3], v[36:37]
	;; [unrolled: 1-line block ×13, first 2 shown]
	v_mul_f64 v[28:29], v[10:11], s[18:19]
	v_add_f64 v[8:9], v[8:9], -v[220:221]
	v_fma_f64 v[30:31], v[4:5], s[16:17], v[28:29]
	v_fma_f64 v[28:29], v[4:5], s[16:17], -v[28:29]
	v_add_f64 v[30:31], v[30:31], v[34:35]
	v_mul_f64 v[34:35], v[6:7], s[16:17]
	v_add_f64 v[28:29], v[28:29], v[32:33]
	v_fma_f64 v[220:221], v[8:9], s[42:43], v[34:35]
	v_fma_f64 v[32:33], v[8:9], s[18:19], v[34:35]
	v_mul_f64 v[34:35], v[10:11], s[12:13]
	v_add_f64 v[38:39], v[220:221], v[38:39]
	v_add_f64 v[32:33], v[32:33], v[36:37]
	v_fma_f64 v[36:37], v[4:5], s[14:15], v[34:35]
	v_fma_f64 v[34:35], v[4:5], s[14:15], -v[34:35]
	v_add_f64 v[36:37], v[36:37], v[42:43]
	v_mul_f64 v[42:43], v[6:7], s[14:15]
	v_add_f64 v[34:35], v[34:35], v[40:41]
	v_fma_f64 v[220:221], v[8:9], s[38:39], v[42:43]
	v_fma_f64 v[40:41], v[8:9], s[12:13], v[42:43]
	v_mul_f64 v[42:43], v[10:11], s[30:31]
	v_add_f64 v[46:47], v[220:221], v[46:47]
	v_add_f64 v[40:41], v[40:41], v[44:45]
	v_fma_f64 v[44:45], v[4:5], s[34:35], v[42:43]
	v_fma_f64 v[42:43], v[4:5], s[34:35], -v[42:43]
	v_add_f64 v[44:45], v[44:45], v[50:51]
	v_mul_f64 v[50:51], v[6:7], s[34:35]
	v_add_f64 v[42:43], v[42:43], v[48:49]
	v_fma_f64 v[220:221], v[8:9], s[44:45], v[50:51]
	v_fma_f64 v[48:49], v[8:9], s[30:31], v[50:51]
	v_mul_f64 v[50:51], v[10:11], s[36:37]
	v_add_f64 v[220:221], v[220:221], v[226:227]
	v_add_f64 v[48:49], v[48:49], v[224:225]
	v_fma_f64 v[222:223], v[4:5], s[28:29], v[50:51]
	v_fma_f64 v[50:51], v[4:5], s[28:29], -v[50:51]
	v_mul_f64 v[224:225], v[6:7], s[28:29]
	v_add_f64 v[222:223], v[222:223], v[230:231]
	v_add_f64 v[50:51], v[50:51], v[228:229]
	v_mul_f64 v[228:229], v[10:11], s[20:21]
	v_fma_f64 v[226:227], v[8:9], s[26:27], v[224:225]
	v_fma_f64 v[224:225], v[8:9], s[36:37], v[224:225]
	v_mul_f64 v[10:11], v[10:11], s[40:41]
	v_fma_f64 v[230:231], v[4:5], s[2:3], v[228:229]
	v_fma_f64 v[228:229], v[4:5], s[2:3], -v[228:229]
	v_add_f64 v[224:225], v[224:225], v[232:233]
	v_mul_f64 v[232:233], v[6:7], s[2:3]
	v_mul_f64 v[6:7], v[6:7], s[22:23]
	v_add_f64 v[226:227], v[226:227], v[234:235]
	v_add_f64 v[230:231], v[230:231], v[238:239]
	;; [unrolled: 1-line block ×3, first 2 shown]
	v_fma_f64 v[236:237], v[4:5], s[22:23], v[10:11]
	v_fma_f64 v[4:5], v[4:5], s[22:23], -v[10:11]
	v_add_f64 v[10:11], v[14:15], -v[218:219]
	v_fma_f64 v[234:235], v[8:9], s[6:7], v[232:233]
	v_fma_f64 v[232:233], v[8:9], s[20:21], v[232:233]
	;; [unrolled: 1-line block ×3, first 2 shown]
	v_add_f64 v[236:237], v[236:237], v[244:245]
	v_add_f64 v[0:1], v[4:5], v[0:1]
	v_fma_f64 v[4:5], v[8:9], s[40:41], v[6:7]
	v_add_f64 v[8:9], v[12:13], -v[216:217]
	v_add_f64 v[6:7], v[14:15], v[218:219]
	v_add_f64 v[232:233], v[232:233], v[240:241]
	;; [unrolled: 1-line block ×5, first 2 shown]
	v_add_f64 v[22:23], v[22:23], -v[26:27]
	v_add_f64 v[2:3], v[4:5], v[2:3]
	v_add_f64 v[4:5], v[12:13], v[216:217]
	v_mul_f64 v[12:13], v[10:11], s[6:7]
	v_mul_f64 v[218:219], v[6:7], s[22:23]
	v_fma_f64 v[14:15], v[4:5], s[2:3], v[12:13]
	v_fma_f64 v[12:13], v[4:5], s[2:3], -v[12:13]
	v_add_f64 v[14:15], v[14:15], v[30:31]
	v_mul_f64 v[30:31], v[6:7], s[2:3]
	v_add_f64 v[12:13], v[12:13], v[28:29]
	v_fma_f64 v[216:217], v[8:9], s[20:21], v[30:31]
	v_fma_f64 v[28:29], v[8:9], s[6:7], v[30:31]
	v_mul_f64 v[30:31], v[10:11], s[30:31]
	v_add_f64 v[38:39], v[216:217], v[38:39]
	v_add_f64 v[28:29], v[28:29], v[32:33]
	v_fma_f64 v[32:33], v[4:5], s[34:35], v[30:31]
	v_fma_f64 v[30:31], v[4:5], s[34:35], -v[30:31]
	v_add_f64 v[32:33], v[32:33], v[36:37]
	v_mul_f64 v[36:37], v[6:7], s[34:35]
	v_add_f64 v[30:31], v[30:31], v[34:35]
	v_fma_f64 v[216:217], v[8:9], s[44:45], v[36:37]
	v_fma_f64 v[34:35], v[8:9], s[30:31], v[36:37]
	v_mul_f64 v[36:37], v[10:11], s[38:39]
	v_add_f64 v[46:47], v[216:217], v[46:47]
	v_add_f64 v[34:35], v[34:35], v[40:41]
	;; [unrolled: 10-line block ×3, first 2 shown]
	v_fma_f64 v[48:49], v[4:5], s[22:23], v[44:45]
	v_fma_f64 v[44:45], v[4:5], s[22:23], -v[44:45]
	v_fma_f64 v[220:221], v[8:9], s[24:25], v[218:219]
	v_add_f64 v[48:49], v[48:49], v[222:223]
	v_add_f64 v[44:45], v[44:45], v[50:51]
	v_fma_f64 v[50:51], v[8:9], s[40:41], v[218:219]
	v_mul_f64 v[218:219], v[10:11], s[18:19]
	v_mul_f64 v[10:11], v[10:11], s[26:27]
	v_add_f64 v[220:221], v[220:221], v[226:227]
	v_add_f64 v[50:51], v[50:51], v[224:225]
	v_fma_f64 v[222:223], v[4:5], s[16:17], v[218:219]
	v_fma_f64 v[218:219], v[4:5], s[16:17], -v[218:219]
	v_mul_f64 v[224:225], v[6:7], s[16:17]
	v_mul_f64 v[6:7], v[6:7], s[28:29]
	v_add_f64 v[222:223], v[222:223], v[230:231]
	v_add_f64 v[218:219], v[218:219], v[228:229]
	v_fma_f64 v[228:229], v[4:5], s[28:29], v[10:11]
	v_fma_f64 v[4:5], v[4:5], s[28:29], -v[10:11]
	v_add_f64 v[10:11], v[18:19], -v[214:215]
	v_fma_f64 v[226:227], v[8:9], s[42:43], v[224:225]
	v_fma_f64 v[224:225], v[8:9], s[18:19], v[224:225]
	;; [unrolled: 1-line block ×3, first 2 shown]
	v_add_f64 v[228:229], v[228:229], v[236:237]
	v_add_f64 v[0:1], v[4:5], v[0:1]
	v_fma_f64 v[4:5], v[8:9], s[26:27], v[6:7]
	v_add_f64 v[8:9], v[16:17], -v[212:213]
	v_add_f64 v[6:7], v[18:19], v[214:215]
	v_add_f64 v[224:225], v[224:225], v[232:233]
	;; [unrolled: 1-line block ×6, first 2 shown]
	v_mul_f64 v[16:17], v[10:11], s[12:13]
	v_fma_f64 v[18:19], v[4:5], s[14:15], v[16:17]
	v_fma_f64 v[16:17], v[4:5], s[14:15], -v[16:17]
	v_add_f64 v[14:15], v[18:19], v[14:15]
	v_mul_f64 v[18:19], v[6:7], s[14:15]
	v_add_f64 v[12:13], v[16:17], v[12:13]
	v_fma_f64 v[212:213], v[8:9], s[38:39], v[18:19]
	v_fma_f64 v[16:17], v[8:9], s[12:13], v[18:19]
	v_mul_f64 v[18:19], v[10:11], s[36:37]
	v_add_f64 v[38:39], v[212:213], v[38:39]
	v_add_f64 v[16:17], v[16:17], v[28:29]
	v_fma_f64 v[28:29], v[4:5], s[28:29], v[18:19]
	v_fma_f64 v[18:19], v[4:5], s[28:29], -v[18:19]
	v_add_f64 v[28:29], v[28:29], v[32:33]
	v_mul_f64 v[32:33], v[6:7], s[28:29]
	v_add_f64 v[18:19], v[18:19], v[30:31]
	v_fma_f64 v[212:213], v[8:9], s[26:27], v[32:33]
	v_fma_f64 v[30:31], v[8:9], s[36:37], v[32:33]
	v_mul_f64 v[32:33], v[10:11], s[40:41]
	v_add_f64 v[46:47], v[212:213], v[46:47]
	v_add_f64 v[30:31], v[30:31], v[34:35]
	;; [unrolled: 10-line block ×3, first 2 shown]
	v_fma_f64 v[42:43], v[4:5], s[2:3], v[40:41]
	v_fma_f64 v[40:41], v[4:5], s[2:3], -v[40:41]
	v_add_f64 v[42:43], v[42:43], v[48:49]
	v_mul_f64 v[48:49], v[6:7], s[2:3]
	v_add_f64 v[40:41], v[40:41], v[44:45]
	v_fma_f64 v[212:213], v[8:9], s[20:21], v[48:49]
	v_fma_f64 v[44:45], v[8:9], s[6:7], v[48:49]
	v_mul_f64 v[48:49], v[10:11], s[44:45]
	v_mul_f64 v[10:11], v[10:11], s[42:43]
	v_add_f64 v[234:235], v[212:213], v[220:221]
	v_mul_f64 v[212:213], v[6:7], s[34:35]
	v_add_f64 v[44:45], v[44:45], v[50:51]
	v_fma_f64 v[50:51], v[4:5], s[34:35], v[48:49]
	v_fma_f64 v[48:49], v[4:5], s[34:35], -v[48:49]
	v_mul_f64 v[6:7], v[6:7], s[16:17]
	v_fma_f64 v[214:215], v[8:9], s[30:31], v[212:213]
	v_fma_f64 v[212:213], v[8:9], s[44:45], v[212:213]
	v_add_f64 v[50:51], v[50:51], v[222:223]
	v_add_f64 v[48:49], v[48:49], v[218:219]
	;; [unrolled: 1-line block ×4, first 2 shown]
	v_fma_f64 v[212:213], v[4:5], s[16:17], v[10:11]
	v_fma_f64 v[4:5], v[4:5], s[16:17], -v[10:11]
	v_add_f64 v[240:241], v[212:213], v[228:229]
	v_add_f64 v[10:11], v[4:5], v[0:1]
	v_fma_f64 v[0:1], v[8:9], s[42:43], v[6:7]
	v_fma_f64 v[212:213], v[8:9], s[18:19], v[6:7]
	v_add_f64 v[8:9], v[20:21], v[24:25]
	v_add_f64 v[24:25], v[20:21], -v[24:25]
	v_mul_f64 v[4:5], v[244:245], s[28:29]
	v_add_f64 v[6:7], v[0:1], v[2:3]
	v_mul_f64 v[2:3], v[22:23], s[26:27]
	v_add_f64 v[242:243], v[212:213], v[230:231]
	v_fma_f64 v[0:1], v[8:9], s[28:29], v[2:3]
	v_fma_f64 v[2:3], v[8:9], s[28:29], -v[2:3]
	v_add_f64 v[253:254], v[0:1], v[14:15]
	v_add_f64 v[2:3], v[2:3], v[12:13]
	v_mul_f64 v[12:13], v[22:23], s[20:21]
	v_fma_f64 v[0:1], v[24:25], s[36:37], v[4:5]
	v_fma_f64 v[4:5], v[24:25], s[26:27], v[4:5]
	v_fma_f64 v[14:15], v[8:9], s[2:3], v[12:13]
	v_fma_f64 v[12:13], v[8:9], s[2:3], -v[12:13]
	v_add_f64 v[4:5], v[4:5], v[16:17]
	v_add_f64 v[0:1], v[0:1], v[38:39]
	;; [unrolled: 1-line block ×3, first 2 shown]
	v_mul_f64 v[14:15], v[244:245], s[2:3]
	v_add_f64 v[212:213], v[12:13], v[18:19]
	v_fma_f64 v[12:13], v[24:25], s[20:21], v[14:15]
	v_fma_f64 v[16:17], v[24:25], s[6:7], v[14:15]
	v_add_f64 v[214:215], v[12:13], v[30:31]
	v_mul_f64 v[12:13], v[22:23], s[18:19]
	v_add_f64 v[218:219], v[16:17], v[46:47]
	v_fma_f64 v[14:15], v[8:9], s[16:17], v[12:13]
	v_fma_f64 v[12:13], v[8:9], s[16:17], -v[12:13]
	v_add_f64 v[220:221], v[14:15], v[34:35]
	v_mul_f64 v[14:15], v[244:245], s[16:17]
	v_add_f64 v[224:225], v[12:13], v[32:33]
	v_fma_f64 v[12:13], v[24:25], s[18:19], v[14:15]
	v_fma_f64 v[16:17], v[24:25], s[42:43], v[14:15]
	v_add_f64 v[226:227], v[12:13], v[36:37]
	v_mul_f64 v[12:13], v[22:23], s[44:45]
	v_add_f64 v[222:223], v[16:17], v[232:233]
	v_fma_f64 v[14:15], v[8:9], s[34:35], v[12:13]
	v_fma_f64 v[12:13], v[8:9], s[34:35], -v[12:13]
	v_add_f64 v[228:229], v[14:15], v[42:43]
	v_mul_f64 v[14:15], v[244:245], s[34:35]
	v_add_f64 v[250:251], v[12:13], v[40:41]
	v_fma_f64 v[16:17], v[24:25], s[30:31], v[14:15]
	v_fma_f64 v[12:13], v[24:25], s[44:45], v[14:15]
	v_add_f64 v[230:231], v[16:17], v[234:235]
	v_add_f64 v[248:249], v[12:13], v[44:45]
	v_mul_f64 v[12:13], v[22:23], s[40:41]
	v_mul_f64 v[16:17], v[244:245], s[22:23]
	v_fma_f64 v[14:15], v[8:9], s[22:23], v[12:13]
	v_fma_f64 v[18:19], v[24:25], s[24:25], v[16:17]
	v_fma_f64 v[12:13], v[8:9], s[22:23], -v[12:13]
	v_add_f64 v[14:15], v[14:15], v[50:51]
	v_add_f64 v[246:247], v[18:19], v[236:237]
	;; [unrolled: 1-line block ×3, first 2 shown]
	v_fma_f64 v[12:13], v[24:25], s[40:41], v[16:17]
	v_add_f64 v[20:21], v[12:13], v[238:239]
	v_mul_f64 v[12:13], v[22:23], s[12:13]
	v_fma_f64 v[16:17], v[8:9], s[14:15], v[12:13]
	v_fma_f64 v[8:9], v[8:9], s[14:15], -v[12:13]
	v_add_f64 v[12:13], v[206:207], -v[210:211]
	v_add_f64 v[238:239], v[16:17], v[240:241]
	v_mul_f64 v[16:17], v[244:245], s[14:15]
	v_add_f64 v[234:235], v[8:9], v[10:11]
	v_add_f64 v[10:11], v[206:207], v[210:211]
	v_fma_f64 v[8:9], v[24:25], s[12:13], v[16:17]
	v_fma_f64 v[22:23], v[24:25], s[38:39], v[16:17]
	v_mul_f64 v[16:17], v[12:13], s[30:31]
	v_add_f64 v[232:233], v[8:9], v[6:7]
	v_add_f64 v[8:9], v[204:205], v[208:209]
	;; [unrolled: 1-line block ×3, first 2 shown]
	v_add_f64 v[6:7], v[204:205], -v[208:209]
	v_fma_f64 v[22:23], v[8:9], s[34:35], v[16:17]
	v_add_f64 v[208:209], v[22:23], v[253:254]
	v_mul_f64 v[22:23], v[10:11], s[34:35]
	v_fma_f64 v[24:25], v[6:7], s[44:45], v[22:23]
	v_add_f64 v[210:211], v[24:25], v[0:1]
	v_fma_f64 v[0:1], v[8:9], s[34:35], -v[16:17]
	v_add_f64 v[204:205], v[0:1], v[2:3]
	v_fma_f64 v[0:1], v[6:7], s[30:31], v[22:23]
	v_mul_f64 v[22:23], v[10:11], s[14:15]
	v_add_f64 v[206:207], v[0:1], v[4:5]
	v_mul_f64 v[0:1], v[12:13], s[40:41]
	v_fma_f64 v[2:3], v[8:9], s[22:23], v[0:1]
	v_fma_f64 v[0:1], v[8:9], s[22:23], -v[0:1]
	v_add_f64 v[216:217], v[2:3], v[216:217]
	v_mul_f64 v[2:3], v[10:11], s[22:23]
	v_add_f64 v[212:213], v[0:1], v[212:213]
	v_fma_f64 v[0:1], v[6:7], s[40:41], v[2:3]
	v_fma_f64 v[4:5], v[6:7], s[24:25], v[2:3]
	v_add_f64 v[214:215], v[0:1], v[214:215]
	v_mul_f64 v[0:1], v[12:13], s[26:27]
	v_add_f64 v[218:219], v[4:5], v[218:219]
	v_fma_f64 v[2:3], v[8:9], s[28:29], v[0:1]
	v_fma_f64 v[0:1], v[8:9], s[28:29], -v[0:1]
	v_add_f64 v[220:221], v[2:3], v[220:221]
	v_mul_f64 v[2:3], v[10:11], s[28:29]
	v_add_f64 v[224:225], v[0:1], v[224:225]
	v_fma_f64 v[0:1], v[6:7], s[26:27], v[2:3]
	v_fma_f64 v[4:5], v[6:7], s[36:37], v[2:3]
	v_add_f64 v[226:227], v[0:1], v[226:227]
	v_mul_f64 v[0:1], v[12:13], s[42:43]
	v_add_f64 v[222:223], v[4:5], v[222:223]
	v_fma_f64 v[2:3], v[8:9], s[16:17], v[0:1]
	v_fma_f64 v[0:1], v[8:9], s[16:17], -v[0:1]
	v_add_f64 v[228:229], v[2:3], v[228:229]
	v_mul_f64 v[2:3], v[10:11], s[16:17]
	v_mul_f64 v[10:11], v[10:11], s[2:3]
	v_add_f64 v[0:1], v[0:1], v[250:251]
	v_fma_f64 v[4:5], v[6:7], s[18:19], v[2:3]
	v_fma_f64 v[2:3], v[6:7], s[42:43], v[2:3]
	v_add_f64 v[230:231], v[4:5], v[230:231]
	v_mul_f64 v[4:5], v[12:13], s[12:13]
	v_add_f64 v[2:3], v[2:3], v[248:249]
	v_fma_f64 v[16:17], v[8:9], s[14:15], v[4:5]
	v_fma_f64 v[4:5], v[8:9], s[14:15], -v[4:5]
	v_add_f64 v[14:15], v[16:17], v[14:15]
	v_add_f64 v[18:19], v[4:5], v[18:19]
	v_fma_f64 v[4:5], v[6:7], s[12:13], v[22:23]
	v_fma_f64 v[16:17], v[6:7], s[38:39], v[22:23]
	v_add_f64 v[20:21], v[4:5], v[20:21]
	v_mul_f64 v[4:5], v[12:13], s[20:21]
	v_add_f64 v[16:17], v[16:17], v[246:247]
	v_fma_f64 v[12:13], v[8:9], s[2:3], v[4:5]
	v_fma_f64 v[4:5], v[8:9], s[2:3], -v[4:5]
	v_add_f64 v[22:23], v[12:13], v[238:239]
	v_fma_f64 v[12:13], v[6:7], s[6:7], v[10:11]
	v_fma_f64 v[6:7], v[6:7], s[20:21], v[10:11]
	v_add_f64 v[4:5], v[4:5], v[234:235]
	v_add_f64 v[24:25], v[12:13], v[236:237]
	;; [unrolled: 1-line block ×3, first 2 shown]
	ds_write_b128 v252, v[200:203]
	ds_write_b128 v252, v[208:211] offset:16
	ds_write_b128 v252, v[216:219] offset:32
	;; [unrolled: 1-line block ×12, first 2 shown]
	s_waitcnt lgkmcnt(0)
	s_barrier
	buffer_gl0_inv
	ds_read_b128 v[200:203], v255
	ds_read_b128 v[248:251], v255 offset:8112
	ds_read_b128 v[224:227], v255 offset:16224
	;; [unrolled: 1-line block ×11, first 2 shown]
	s_and_saveexec_b32 s1, vcc_lo
	s_cbranch_execz .LBB0_11
; %bb.10:
	ds_read_b128 v[204:207], v255 offset:7488
	ds_read_b128 v[192:195], v255 offset:15600
	;; [unrolled: 1-line block ×4, first 2 shown]
.LBB0_11:
	s_or_b32 exec_lo, exec_lo, s1
	s_waitcnt lgkmcnt(5)
	v_mul_f64 v[16:17], v[82:83], v[238:239]
	s_waitcnt lgkmcnt(2)
	v_mul_f64 v[26:27], v[66:67], v[244:245]
	;; [unrolled: 2-line block ×4, first 2 shown]
	v_mul_f64 v[32:33], v[54:55], v[234:235]
	v_mul_f64 v[12:13], v[86:87], v[230:231]
	;; [unrolled: 1-line block ×4, first 2 shown]
	s_barrier
	buffer_gl0_inv
	v_mul_f64 v[0:1], v[98:99], v[250:251]
	v_mul_f64 v[2:3], v[98:99], v[248:249]
	;; [unrolled: 1-line block ×11, first 2 shown]
	v_fma_f64 v[16:17], v[80:81], v[236:237], v[16:17]
	v_fma_f64 v[26:27], v[64:65], v[246:247], -v[26:27]
	v_fma_f64 v[28:29], v[60:61], v[240:241], v[28:29]
	v_fma_f64 v[34:35], v[52:53], v[234:235], -v[34:35]
	v_fma_f64 v[32:33], v[52:53], v[232:233], v[32:33]
	v_fma_f64 v[12:13], v[84:85], v[228:229], v[12:13]
	v_fma_f64 v[14:15], v[84:85], v[230:231], -v[14:15]
	v_fma_f64 v[18:19], v[80:81], v[238:239], -v[18:19]
	v_mul_f64 v[38:39], v[78:79], v[192:193]
	v_mul_f64 v[40:41], v[74:75], v[198:199]
	;; [unrolled: 1-line block ×3, first 2 shown]
	v_fma_f64 v[0:1], v[96:97], v[248:249], v[0:1]
	v_fma_f64 v[2:3], v[96:97], v[250:251], -v[2:3]
	v_fma_f64 v[4:5], v[92:93], v[224:225], v[4:5]
	v_fma_f64 v[6:7], v[92:93], v[226:227], -v[6:7]
	v_fma_f64 v[8:9], v[88:89], v[216:217], v[8:9]
	v_fma_f64 v[10:11], v[88:89], v[218:219], -v[10:11]
	v_mul_f64 v[44:45], v[58:59], v[142:143]
	v_mul_f64 v[46:47], v[58:59], v[140:141]
	v_fma_f64 v[24:25], v[64:65], v[244:245], v[24:25]
	v_fma_f64 v[30:31], v[60:61], v[242:243], -v[30:31]
	v_fma_f64 v[20:21], v[68:69], v[220:221], v[20:21]
	v_add_f64 v[52:53], v[208:209], -v[16:17]
	v_fma_f64 v[22:23], v[68:69], v[222:223], -v[22:23]
	v_add_f64 v[28:29], v[212:213], -v[28:29]
	v_add_f64 v[16:17], v[26:27], -v[34:35]
	v_fma_f64 v[36:37], v[76:77], v[192:193], v[36:37]
	v_add_f64 v[54:55], v[210:211], -v[18:19]
	v_fma_f64 v[38:39], v[76:77], v[194:195], -v[38:39]
	v_fma_f64 v[40:41], v[72:73], v[196:197], v[40:41]
	v_fma_f64 v[42:43], v[72:73], v[198:199], -v[42:43]
	v_add_f64 v[48:49], v[200:201], -v[4:5]
	v_add_f64 v[50:51], v[202:203], -v[6:7]
	;; [unrolled: 1-line block ×4, first 2 shown]
	v_fma_f64 v[44:45], v[56:57], v[140:141], v[44:45]
	v_fma_f64 v[46:47], v[56:57], v[142:143], -v[46:47]
	v_add_f64 v[18:19], v[24:25], -v[32:33]
	v_add_f64 v[30:31], v[214:215], -v[30:31]
	;; [unrolled: 1-line block ×3, first 2 shown]
	v_fma_f64 v[60:61], v[208:209], 2.0, -v[52:53]
	v_add_f64 v[10:11], v[14:15], -v[22:23]
	v_fma_f64 v[84:85], v[212:213], 2.0, -v[28:29]
	v_fma_f64 v[26:27], v[26:27], 2.0, -v[16:17]
	v_add_f64 v[16:17], v[28:29], v[16:17]
	v_fma_f64 v[62:63], v[210:211], 2.0, -v[54:55]
	v_add_f64 v[32:33], v[204:205], -v[40:41]
	v_add_f64 v[34:35], v[206:207], -v[42:43]
	v_fma_f64 v[20:21], v[0:1], 2.0, -v[4:5]
	v_fma_f64 v[22:23], v[2:3], 2.0, -v[6:7]
	v_add_f64 v[40:41], v[36:37], -v[44:45]
	v_add_f64 v[42:43], v[38:39], -v[46:47]
	v_fma_f64 v[44:45], v[200:201], 2.0, -v[48:49]
	v_fma_f64 v[46:47], v[202:203], 2.0, -v[50:51]
	;; [unrolled: 1-line block ×4, first 2 shown]
	v_add_f64 v[0:1], v[48:49], v[6:7]
	v_add_f64 v[2:3], v[50:51], -v[4:5]
	v_fma_f64 v[12:13], v[12:13], 2.0, -v[8:9]
	v_fma_f64 v[80:81], v[28:29], 2.0, -v[16:17]
	buffer_load_dword v28, off, s[48:51], 0 offset:240 ; 4-byte Folded Reload
	v_fma_f64 v[14:15], v[14:15], 2.0, -v[10:11]
	v_add_f64 v[4:5], v[52:53], v[10:11]
	v_add_f64 v[6:7], v[54:55], -v[8:9]
	v_fma_f64 v[88:89], v[204:205], 2.0, -v[32:33]
	v_fma_f64 v[90:91], v[206:207], 2.0, -v[34:35]
	v_add_f64 v[18:19], v[30:31], -v[18:19]
	v_fma_f64 v[36:37], v[36:37], 2.0, -v[40:41]
	v_fma_f64 v[38:39], v[38:39], 2.0, -v[42:43]
	v_add_f64 v[8:9], v[44:45], -v[20:21]
	v_add_f64 v[10:11], v[46:47], -v[22:23]
	;; [unrolled: 1-line block ×4, first 2 shown]
	v_fma_f64 v[24:25], v[48:49], 2.0, -v[0:1]
	v_fma_f64 v[26:27], v[50:51], 2.0, -v[2:3]
	v_add_f64 v[12:13], v[60:61], -v[12:13]
	v_add_f64 v[64:65], v[32:33], v[42:43]
	v_add_f64 v[66:67], v[34:35], -v[40:41]
	v_add_f64 v[14:15], v[62:63], -v[14:15]
	v_fma_f64 v[68:69], v[52:53], 2.0, -v[4:5]
	v_fma_f64 v[70:71], v[54:55], 2.0, -v[6:7]
	;; [unrolled: 1-line block ×3, first 2 shown]
	v_add_f64 v[56:57], v[88:89], -v[36:37]
	v_add_f64 v[58:59], v[90:91], -v[38:39]
	v_fma_f64 v[72:73], v[44:45], 2.0, -v[8:9]
	v_fma_f64 v[74:75], v[46:47], 2.0, -v[10:11]
	;; [unrolled: 1-line block ×4, first 2 shown]
	s_waitcnt vmcnt(0)
	ds_write_b128 v28, v[0:3] offset:624
	ds_write_b128 v28, v[24:27] offset:208
	;; [unrolled: 1-line block ×3, first 2 shown]
	ds_write_b128 v28, v[72:75]
	buffer_load_dword v0, off, s[48:51], 0 offset:236 ; 4-byte Folded Reload
	v_fma_f64 v[76:77], v[60:61], 2.0, -v[12:13]
	v_fma_f64 v[78:79], v[62:63], 2.0, -v[14:15]
	;; [unrolled: 1-line block ×6, first 2 shown]
	s_waitcnt vmcnt(0)
	ds_write_b128 v0, v[76:79]
	ds_write_b128 v0, v[68:71] offset:208
	ds_write_b128 v0, v[12:15] offset:416
	;; [unrolled: 1-line block ×3, first 2 shown]
	buffer_load_dword v0, off, s[48:51], 0 offset:232 ; 4-byte Folded Reload
	s_waitcnt vmcnt(0)
	ds_write_b128 v0, v[84:87]
	ds_write_b128 v0, v[80:83] offset:208
	ds_write_b128 v0, v[20:23] offset:416
	;; [unrolled: 1-line block ×3, first 2 shown]
	s_and_saveexec_b32 s1, vcc_lo
	s_cbranch_execz .LBB0_13
; %bb.12:
	s_clause 0x1
	buffer_load_dword v0, off, s[48:51], 0 offset:220
	buffer_load_dword v1, off, s[48:51], 0 offset:224
	s_waitcnt vmcnt(0)
	v_mad_u16 v0, v0, 52, v1
	v_mov_b32_e32 v1, 4
	v_lshlrev_b32_sdwa v0, v1, v0 dst_sel:DWORD dst_unused:UNUSED_PAD src0_sel:DWORD src1_sel:WORD_0
	ds_write_b128 v0, v[52:55]
	ds_write_b128 v0, v[60:63] offset:208
	ds_write_b128 v0, v[56:59] offset:416
	ds_write_b128 v0, v[64:67] offset:624
.LBB0_13:
	s_or_b32 exec_lo, exec_lo, s1
	s_waitcnt lgkmcnt(0)
	s_barrier
	buffer_gl0_inv
	ds_read_b128 v[72:75], v255
	ds_read_b128 v[68:71], v255 offset:2496
	ds_read_b128 v[140:143], v255 offset:10816
	ds_read_b128 v[80:83], v255 offset:13312
	ds_read_b128 v[192:195], v255 offset:21632
	ds_read_b128 v[88:91], v255 offset:24128
	ds_read_b128 v[76:79], v255 offset:4992
	ds_read_b128 v[64:67], v255 offset:7488
	ds_read_b128 v[96:99], v255 offset:15808
	ds_read_b128 v[84:87], v255 offset:18304
	ds_read_b128 v[196:199], v255 offset:26624
	ds_read_b128 v[92:95], v255 offset:29120
	s_mov_b32 s1, exec_lo
	buffer_load_dword v200, off, s[48:51], 0 offset:8 ; 4-byte Folded Reload
	s_and_b32 s2, s1, s0
	s_mov_b32 exec_lo, s2
	s_cbranch_execz .LBB0_15
; %bb.14:
	ds_read_b128 v[52:55], v255 offset:9984
	ds_read_b128 v[60:63], v255 offset:20800
	ds_read_b128 v[56:59], v255 offset:31616
.LBB0_15:
	s_or_b32 exec_lo, exec_lo, s1
	s_waitcnt lgkmcnt(9)
	v_mul_f64 v[2:3], v[102:103], v[140:141]
	s_waitcnt lgkmcnt(7)
	v_mul_f64 v[6:7], v[106:107], v[192:193]
	;; [unrolled: 2-line block ×4, first 2 shown]
	v_mul_f64 v[0:1], v[102:103], v[142:143]
	v_mul_f64 v[4:5], v[106:107], v[194:195]
	;; [unrolled: 1-line block ×12, first 2 shown]
	s_mov_b32 s2, 0xe8584caa
	s_mov_b32 s3, 0xbfebb67a
	;; [unrolled: 1-line block ×4, first 2 shown]
	s_waitcnt vmcnt(0)
	s_barrier
	v_fma_f64 v[2:3], v[100:101], v[142:143], -v[2:3]
	v_fma_f64 v[6:7], v[104:105], v[194:195], -v[6:7]
	v_fma_f64 v[24:25], v[132:133], v[84:85], v[24:25]
	v_fma_f64 v[26:27], v[136:137], v[92:93], v[26:27]
	;; [unrolled: 1-line block ×7, first 2 shown]
	v_fma_f64 v[20:21], v[124:125], v[98:99], -v[20:21]
	v_fma_f64 v[28:29], v[132:133], v[86:87], -v[28:29]
	;; [unrolled: 1-line block ×3, first 2 shown]
	v_fma_f64 v[10:11], v[120:121], v[88:89], v[10:11]
	v_fma_f64 v[12:13], v[116:117], v[82:83], -v[12:13]
	v_fma_f64 v[22:23], v[128:129], v[198:199], -v[22:23]
	buffer_gl0_inv
	v_fma_f64 v[14:15], v[120:121], v[90:91], -v[14:15]
	v_add_f64 v[34:35], v[2:3], v[6:7]
	v_add_f64 v[46:47], v[2:3], -v[6:7]
	v_add_f64 v[48:49], v[24:25], v[26:27]
	v_add_f64 v[42:43], v[72:73], v[0:1]
	v_add_f64 v[80:81], v[0:1], -v[4:5]
	v_add_f64 v[82:83], v[68:69], v[8:9]
	v_add_f64 v[86:87], v[76:77], v[16:17]
	;; [unrolled: 1-line block ×6, first 2 shown]
	v_add_f64 v[28:29], v[28:29], -v[30:31]
	v_add_f64 v[32:33], v[0:1], v[4:5]
	v_add_f64 v[36:37], v[8:9], v[10:11]
	;; [unrolled: 1-line block ×4, first 2 shown]
	v_add_f64 v[94:95], v[20:21], -v[22:23]
	v_add_f64 v[96:97], v[16:17], -v[18:19]
	v_add_f64 v[38:39], v[12:13], v[14:15]
	v_add_f64 v[84:85], v[70:71], v[12:13]
	;; [unrolled: 1-line block ×3, first 2 shown]
	v_add_f64 v[98:99], v[24:25], -v[26:27]
	v_fma_f64 v[34:35], v[34:35], -0.5, v[74:75]
	v_add_f64 v[74:75], v[8:9], -v[10:11]
	v_fma_f64 v[48:49], v[48:49], -0.5, v[64:65]
	v_add_f64 v[0:1], v[42:43], v[4:5]
	v_add_f64 v[4:5], v[82:83], v[10:11]
	v_add_f64 v[8:9], v[86:87], v[18:19]
	v_fma_f64 v[40:41], v[40:41], -0.5, v[76:77]
	v_add_f64 v[10:11], v[88:89], v[22:23]
	v_fma_f64 v[42:43], v[50:51], -0.5, v[66:67]
	v_fma_f64 v[32:33], v[32:33], -0.5, v[72:73]
	v_add_f64 v[72:73], v[12:13], -v[14:15]
	v_fma_f64 v[36:37], v[36:37], -0.5, v[68:69]
	v_add_f64 v[2:3], v[2:3], v[6:7]
	v_fma_f64 v[44:45], v[44:45], -0.5, v[78:79]
	v_fma_f64 v[38:39], v[38:39], -0.5, v[70:71]
	v_add_f64 v[6:7], v[84:85], v[14:15]
	v_add_f64 v[12:13], v[90:91], v[26:27]
	;; [unrolled: 1-line block ×3, first 2 shown]
	v_fma_f64 v[18:19], v[80:81], s[6:7], v[34:35]
	v_fma_f64 v[22:23], v[80:81], s[2:3], v[34:35]
	;; [unrolled: 1-line block ×4, first 2 shown]
	buffer_load_dword v28, off, s[48:51], 0 offset:244 ; 4-byte Folded Reload
	v_fma_f64 v[68:69], v[94:95], s[2:3], v[40:41]
	v_fma_f64 v[78:79], v[98:99], s[6:7], v[42:43]
	v_fma_f64 v[82:83], v[98:99], s[2:3], v[42:43]
	v_fma_f64 v[16:17], v[46:47], s[2:3], v[32:33]
	v_fma_f64 v[20:21], v[46:47], s[6:7], v[32:33]
	v_fma_f64 v[24:25], v[72:73], s[2:3], v[36:37]
	v_fma_f64 v[64:65], v[72:73], s[6:7], v[36:37]
	v_fma_f64 v[70:71], v[96:97], s[6:7], v[44:45]
	v_fma_f64 v[72:73], v[94:95], s[6:7], v[40:41]
	v_fma_f64 v[26:27], v[74:75], s[6:7], v[38:39]
	v_fma_f64 v[66:67], v[74:75], s[2:3], v[38:39]
	v_fma_f64 v[74:75], v[96:97], s[2:3], v[44:45]
	s_waitcnt vmcnt(0)
	ds_write_b128 v28, v[0:3]
	ds_write_b128 v28, v[16:19] offset:832
	ds_write_b128 v28, v[20:23] offset:1664
	buffer_load_dword v0, off, s[48:51], 0 offset:248 ; 4-byte Folded Reload
	s_waitcnt vmcnt(0)
	ds_write_b128 v0, v[4:7]
	ds_write_b128 v0, v[24:27] offset:832
	ds_write_b128 v0, v[64:67] offset:1664
	buffer_load_dword v0, off, s[48:51], 0 offset:252 ; 4-byte Folded Reload
	;; [unrolled: 5-line block ×3, first 2 shown]
	s_waitcnt vmcnt(0)
	ds_write_b128 v0, v[12:15]
	ds_write_b128 v0, v[76:79] offset:832
	ds_write_b128 v0, v[80:83] offset:1664
	s_and_saveexec_b32 s1, s0
	s_cbranch_execz .LBB0_17
; %bb.16:
	v_mul_f64 v[0:1], v[110:111], v[60:61]
	v_mul_f64 v[2:3], v[114:115], v[56:57]
	;; [unrolled: 1-line block ×4, first 2 shown]
	v_fma_f64 v[0:1], v[108:109], v[62:63], -v[0:1]
	v_fma_f64 v[2:3], v[112:113], v[58:59], -v[2:3]
	v_fma_f64 v[4:5], v[108:109], v[60:61], v[4:5]
	v_fma_f64 v[6:7], v[112:113], v[56:57], v[6:7]
	v_add_f64 v[14:15], v[54:55], v[0:1]
	v_add_f64 v[8:9], v[2:3], v[0:1]
	v_add_f64 v[16:17], v[0:1], -v[2:3]
	v_add_f64 v[10:11], v[6:7], v[4:5]
	v_add_f64 v[12:13], v[4:5], -v[6:7]
	v_add_f64 v[4:5], v[52:53], v[4:5]
	v_add_f64 v[2:3], v[2:3], v[14:15]
	v_fma_f64 v[8:9], v[8:9], -0.5, v[54:55]
	v_fma_f64 v[18:19], v[10:11], -0.5, v[52:53]
	v_add_f64 v[0:1], v[6:7], v[4:5]
	v_fma_f64 v[6:7], v[12:13], s[2:3], v[8:9]
	v_fma_f64 v[10:11], v[12:13], s[6:7], v[8:9]
	buffer_load_dword v13, off, s[48:51], 0 offset:228 ; 4-byte Folded Reload
	v_fma_f64 v[8:9], v[16:17], s[2:3], v[18:19]
	v_fma_f64 v[4:5], v[16:17], s[6:7], v[18:19]
	v_mov_b32_e32 v12, 4
	s_waitcnt vmcnt(0)
	v_lshlrev_b32_sdwa v12, v12, v13 dst_sel:DWORD dst_unused:UNUSED_PAD src0_sel:DWORD src1_sel:WORD_0
	ds_write_b128 v12, v[0:3] offset:29952
	ds_write_b128 v12, v[8:11] offset:30784
	;; [unrolled: 1-line block ×3, first 2 shown]
.LBB0_17:
	s_or_b32 exec_lo, exec_lo, s1
	s_waitcnt lgkmcnt(0)
	s_barrier
	buffer_gl0_inv
	ds_read_b128 v[0:3], v255 offset:2496
	ds_read_b128 v[52:55], v255
	ds_read_b128 v[4:7], v255 offset:4992
	ds_read_b128 v[8:11], v255 offset:7488
	;; [unrolled: 1-line block ×11, first 2 shown]
	s_mov_b32 s2, 0x4267c47c
	s_mov_b32 s3, 0xbfddbe06
	;; [unrolled: 1-line block ×9, first 2 shown]
	s_waitcnt lgkmcnt(10)
	v_mul_f64 v[36:37], v[154:155], v[6:7]
	s_waitcnt lgkmcnt(9)
	v_mul_f64 v[38:39], v[150:151], v[10:11]
	v_mul_f64 v[40:41], v[150:151], v[8:9]
	s_waitcnt lgkmcnt(8)
	v_mul_f64 v[42:43], v[146:147], v[14:15]
	;; [unrolled: 3-line block ×3, first 2 shown]
	s_waitcnt lgkmcnt(5)
	v_mul_f64 v[86:87], v[162:163], v[24:25]
	s_waitcnt lgkmcnt(3)
	v_mul_f64 v[80:81], v[178:179], v[56:57]
	v_mul_f64 v[32:33], v[174:175], v[2:3]
	;; [unrolled: 1-line block ×3, first 2 shown]
	s_waitcnt lgkmcnt(0)
	v_mul_f64 v[44:45], v[186:187], v[70:71]
	v_mul_f64 v[90:91], v[158:159], v[28:29]
	;; [unrolled: 1-line block ×9, first 2 shown]
	s_mov_b32 s26, 0xb2365da1
	s_mov_b32 s30, 0x24c2f84
	;; [unrolled: 1-line block ×4, first 2 shown]
	v_fma_f64 v[8:9], v[148:149], v[8:9], v[38:39]
	v_fma_f64 v[10:11], v[148:149], v[10:11], -v[40:41]
	v_fma_f64 v[12:13], v[144:145], v[12:13], v[42:43]
	v_mul_f64 v[38:39], v[182:183], v[64:65]
	v_fma_f64 v[14:15], v[144:145], v[14:15], -v[48:49]
	v_fma_f64 v[16:17], v[164:165], v[16:17], v[74:75]
	v_fma_f64 v[58:59], v[176:177], v[58:59], -v[80:81]
	v_fma_f64 v[32:33], v[172:173], v[0:1], v[32:33]
	v_mul_f64 v[0:1], v[154:155], v[4:5]
	v_fma_f64 v[2:3], v[172:173], v[2:3], -v[34:35]
	v_fma_f64 v[34:35], v[152:153], v[4:5], v[36:37]
	v_mul_f64 v[36:37], v[186:187], v[68:69]
	v_fma_f64 v[40:41], v[184:185], v[68:69], v[44:45]
	v_fma_f64 v[48:49], v[188:189], v[60:61], v[50:51]
	v_fma_f64 v[50:51], v[188:189], v[62:63], -v[72:73]
	v_fma_f64 v[18:19], v[164:165], v[18:19], -v[76:77]
	v_fma_f64 v[56:57], v[176:177], v[56:57], v[78:79]
	s_mov_b32 s40, 0x93053d00
	s_mov_b32 s1, 0x3fddbe06
	;; [unrolled: 1-line block ×8, first 2 shown]
	v_fma_f64 v[38:39], v[180:181], v[66:67], -v[38:39]
	s_mov_b32 s37, 0xbfe7f3cc
	s_mov_b32 s35, 0xbfcea1e5
	v_add_f64 v[72:73], v[14:15], v[58:59]
	v_add_f64 v[4:5], v[52:53], v[32:33]
	v_fma_f64 v[46:47], v[152:153], v[6:7], -v[0:1]
	v_add_f64 v[0:1], v[54:55], v[2:3]
	v_mul_f64 v[6:7], v[182:183], v[66:67]
	v_fma_f64 v[36:37], v[184:185], v[70:71], -v[36:37]
	v_mul_f64 v[70:71], v[162:163], v[26:27]
	v_add_f64 v[74:75], v[14:15], -v[58:59]
	v_add_f64 v[62:63], v[8:9], v[48:49]
	v_add_f64 v[66:67], v[10:11], v[50:51]
	v_add_f64 v[68:69], v[8:9], -v[48:49]
	s_mov_b32 s41, 0xbfef11f4
	s_mov_b32 s0, s2
	;; [unrolled: 1-line block ×11, first 2 shown]
	v_mul_f64 v[136:137], v[72:73], s[26:27]
	v_add_f64 v[4:5], v[4:5], v[34:35]
	v_add_f64 v[60:61], v[46:47], v[38:39]
	;; [unrolled: 1-line block ×3, first 2 shown]
	v_fma_f64 v[64:65], v[180:181], v[64:65], v[6:7]
	v_fma_f64 v[6:7], v[160:161], v[26:27], -v[86:87]
	v_fma_f64 v[26:27], v[156:157], v[30:31], -v[90:91]
	v_fma_f64 v[0:1], v[168:169], v[20:21], v[82:83]
	v_add_f64 v[20:21], v[2:3], -v[36:37]
	v_add_f64 v[46:47], v[46:47], -v[38:39]
	v_mul_f64 v[114:115], v[66:67], s[20:21]
	v_mul_f64 v[118:119], v[66:67], s[40:41]
	;; [unrolled: 1-line block ×8, first 2 shown]
	v_add_f64 v[42:43], v[4:5], v[8:9]
	v_fma_f64 v[4:5], v[168:169], v[22:23], -v[84:85]
	v_add_f64 v[30:31], v[44:45], v[10:11]
	v_add_f64 v[22:23], v[2:3], v[36:37]
	v_fma_f64 v[2:3], v[160:161], v[24:25], v[70:71]
	v_fma_f64 v[24:25], v[156:157], v[28:29], v[88:89]
	v_add_f64 v[28:29], v[32:33], v[40:41]
	v_add_f64 v[8:9], v[10:11], -v[50:51]
	v_mul_f64 v[10:11], v[20:21], s[2:3]
	v_add_f64 v[32:33], v[32:33], -v[40:41]
	v_mul_f64 v[78:79], v[20:21], s[14:15]
	v_add_f64 v[44:45], v[34:35], v[64:65]
	v_mul_f64 v[82:83], v[20:21], s[18:19]
	v_mul_f64 v[86:87], v[20:21], s[24:25]
	;; [unrolled: 1-line block ×5, first 2 shown]
	v_add_f64 v[34:35], v[34:35], -v[64:65]
	v_mul_f64 v[94:95], v[60:61], s[16:17]
	v_mul_f64 v[96:97], v[46:47], s[24:25]
	;; [unrolled: 1-line block ×4, first 2 shown]
	v_add_f64 v[42:43], v[42:43], v[12:13]
	v_mul_f64 v[102:103], v[60:61], s[40:41]
	v_add_f64 v[14:15], v[30:31], v[14:15]
	v_mul_f64 v[76:77], v[22:23], s[6:7]
	v_mul_f64 v[80:81], v[22:23], s[16:17]
	;; [unrolled: 1-line block ×12, first 2 shown]
	v_fma_f64 v[8:9], v[28:29], s[6:7], v[10:11]
	v_fma_f64 v[142:143], v[28:29], s[16:17], v[78:79]
	v_fma_f64 v[78:79], v[28:29], s[16:17], -v[78:79]
	v_mul_f64 v[104:105], v[46:47], s[38:39]
	v_mul_f64 v[106:107], v[60:61], s[36:37]
	;; [unrolled: 1-line block ×4, first 2 shown]
	v_add_f64 v[42:43], v[42:43], v[16:17]
	v_mul_f64 v[46:47], v[46:47], s[0:1]
	v_add_f64 v[14:15], v[14:15], v[18:19]
	v_fma_f64 v[140:141], v[32:33], s[0:1], v[76:77]
	v_fma_f64 v[76:77], v[32:33], s[2:3], v[76:77]
	;; [unrolled: 1-line block ×4, first 2 shown]
	v_mul_f64 v[60:61], v[60:61], s[6:7]
	v_fma_f64 v[10:11], v[28:29], s[6:7], -v[10:11]
	v_fma_f64 v[146:147], v[28:29], s[20:21], v[82:83]
	v_fma_f64 v[148:149], v[32:33], s[22:23], v[84:85]
	v_fma_f64 v[82:83], v[28:29], s[20:21], -v[82:83]
	v_fma_f64 v[84:85], v[32:33], s[18:19], v[84:85]
	v_fma_f64 v[150:151], v[28:29], s[26:27], v[86:87]
	v_fma_f64 v[86:87], v[28:29], s[26:27], -v[86:87]
	v_fma_f64 v[154:155], v[28:29], s[36:37], v[88:89]
	v_fma_f64 v[88:89], v[28:29], s[36:37], -v[88:89]
	v_fma_f64 v[158:159], v[28:29], s[40:41], v[20:21]
	v_fma_f64 v[160:161], v[32:33], s[42:43], v[22:23]
	v_fma_f64 v[20:21], v[28:29], s[40:41], -v[20:21]
	v_fma_f64 v[22:23], v[32:33], s[34:35], v[22:23]
	v_fma_f64 v[28:29], v[44:45], s[16:17], v[92:93]
	v_add_f64 v[42:43], v[42:43], v[0:1]
	v_add_f64 v[8:9], v[52:53], v[8:9]
	;; [unrolled: 1-line block ×3, first 2 shown]
	v_fma_f64 v[156:157], v[32:33], s[38:39], v[90:91]
	v_fma_f64 v[152:153], v[32:33], s[28:29], v[30:31]
	;; [unrolled: 1-line block ×8, first 2 shown]
	v_fma_f64 v[96:97], v[44:45], s[26:27], -v[96:97]
	v_fma_f64 v[98:99], v[34:35], s[24:25], v[98:99]
	v_add_f64 v[140:141], v[54:55], v[140:141]
	v_add_f64 v[76:77], v[54:55], v[76:77]
	;; [unrolled: 1-line block ×4, first 2 shown]
	v_fma_f64 v[92:93], v[44:45], s[16:17], -v[92:93]
	v_fma_f64 v[166:167], v[44:45], s[40:41], v[100:101]
	v_fma_f64 v[168:169], v[34:35], s[42:43], v[102:103]
	v_fma_f64 v[100:101], v[44:45], s[40:41], -v[100:101]
	v_fma_f64 v[102:103], v[34:35], s[34:35], v[102:103]
	v_add_f64 v[42:43], v[42:43], v[2:3]
	v_fma_f64 v[170:171], v[44:45], s[36:37], v[104:105]
	v_add_f64 v[14:15], v[14:15], v[6:7]
	v_fma_f64 v[172:173], v[34:35], s[30:31], v[106:107]
	v_fma_f64 v[104:105], v[44:45], s[36:37], -v[104:105]
	v_fma_f64 v[106:107], v[34:35], s[38:39], v[106:107]
	v_fma_f64 v[174:175], v[44:45], s[20:21], v[108:109]
	v_fma_f64 v[176:177], v[34:35], s[18:19], v[110:111]
	v_fma_f64 v[108:109], v[44:45], s[20:21], -v[108:109]
	v_fma_f64 v[110:111], v[34:35], s[22:23], v[110:111]
	v_fma_f64 v[178:179], v[44:45], s[6:7], v[46:47]
	;; [unrolled: 4-line block ×3, first 2 shown]
	v_add_f64 v[10:11], v[52:53], v[10:11]
	v_add_f64 v[142:143], v[52:53], v[142:143]
	;; [unrolled: 1-line block ×17, first 2 shown]
	v_add_f64 v[12:13], v[12:13], -v[56:57]
	v_fma_f64 v[182:183], v[68:69], s[42:43], v[118:119]
	v_fma_f64 v[118:119], v[68:69], s[34:35], v[118:119]
	v_add_f64 v[28:29], v[32:33], v[140:141]
	v_add_f64 v[32:33], v[94:95], v[76:77]
	;; [unrolled: 1-line block ×4, first 2 shown]
	v_fma_f64 v[60:61], v[62:63], s[20:21], -v[112:113]
	v_fma_f64 v[112:113], v[68:69], s[18:19], v[114:115]
	v_fma_f64 v[184:185], v[62:63], s[26:27], v[120:121]
	;; [unrolled: 1-line block ×4, first 2 shown]
	v_add_f64 v[42:43], v[42:43], v[56:57]
	v_fma_f64 v[56:57], v[68:69], s[22:23], v[114:115]
	v_add_f64 v[14:15], v[14:15], v[58:59]
	v_fma_f64 v[114:115], v[62:63], s[40:41], v[116:117]
	v_fma_f64 v[116:117], v[62:63], s[40:41], -v[116:117]
	v_fma_f64 v[188:189], v[62:63], s[6:7], v[124:125]
	v_add_f64 v[30:31], v[54:55], v[30:31]
	v_add_f64 v[154:155], v[52:53], v[154:155]
	;; [unrolled: 1-line block ×10, first 2 shown]
	v_fma_f64 v[120:121], v[62:63], s[26:27], -v[120:121]
	v_fma_f64 v[194:195], v[68:69], s[12:13], v[130:131]
	v_add_f64 v[82:83], v[100:101], v[82:83]
	v_fma_f64 v[190:191], v[68:69], s[2:3], v[126:127]
	v_fma_f64 v[58:59], v[62:63], s[36:37], v[132:133]
	v_add_f64 v[96:97], v[172:173], v[152:153]
	v_add_f64 v[42:43], v[42:43], v[48:49]
	v_fma_f64 v[124:125], v[62:63], s[6:7], -v[124:125]
	v_add_f64 v[14:15], v[14:15], v[50:51]
	v_add_f64 v[50:51], v[52:53], v[88:89]
	;; [unrolled: 1-line block ×7, first 2 shown]
	v_fma_f64 v[192:193], v[62:63], s[16:17], v[128:129]
	v_fma_f64 v[128:129], v[62:63], s[16:17], -v[128:129]
	v_fma_f64 v[48:49], v[68:69], s[38:39], v[66:67]
	v_add_f64 v[28:29], v[56:57], v[28:29]
	v_add_f64 v[56:57], v[118:119], v[78:79]
	v_fma_f64 v[66:67], v[68:69], s[30:31], v[66:67]
	v_fma_f64 v[78:79], v[70:71], s[26:27], v[134:135]
	v_add_f64 v[44:45], v[60:61], v[10:11]
	v_add_f64 v[60:61], v[184:185], v[80:81]
	v_fma_f64 v[80:81], v[12:13], s[28:29], v[136:137]
	v_add_f64 v[32:33], v[112:113], v[32:33]
	v_fma_f64 v[126:127], v[68:69], s[0:1], v[126:127]
	v_fma_f64 v[130:131], v[68:69], s[14:15], v[130:131]
	v_add_f64 v[42:43], v[42:43], v[64:65]
	v_add_f64 v[68:69], v[190:191], v[96:97]
	;; [unrolled: 1-line block ×11, first 2 shown]
	v_mul_f64 v[92:93], v[74:75], s[0:1]
	v_mul_f64 v[96:97], v[74:75], s[18:19]
	v_add_f64 v[50:51], v[108:109], v[50:51]
	v_add_f64 v[88:89], v[110:111], v[88:89]
	;; [unrolled: 1-line block ×3, first 2 shown]
	v_fma_f64 v[66:67], v[70:71], s[36:37], -v[138:139]
	v_add_f64 v[102:103], v[16:17], v[24:25]
	v_add_f64 v[28:29], v[80:81], v[28:29]
	v_add_f64 v[16:17], v[16:17], -v[24:25]
	v_add_f64 v[30:31], v[106:107], v[30:31]
	v_add_f64 v[64:65], v[174:175], v[154:155]
	;; [unrolled: 1-line block ×3, first 2 shown]
	v_fma_f64 v[40:41], v[62:63], s[36:37], -v[132:133]
	v_mul_f64 v[62:63], v[72:73], s[36:37]
	v_add_f64 v[10:11], v[14:15], v[36:37]
	v_add_f64 v[36:37], v[122:123], v[84:85]
	;; [unrolled: 1-line block ×3, first 2 shown]
	v_fma_f64 v[84:85], v[70:71], s[26:27], -v[134:135]
	v_mul_f64 v[94:95], v[72:73], s[6:7]
	v_add_f64 v[14:15], v[120:121], v[82:83]
	v_add_f64 v[82:83], v[194:195], v[86:87]
	v_fma_f64 v[86:87], v[12:13], s[24:25], v[136:137]
	v_add_f64 v[58:59], v[58:59], v[90:91]
	v_fma_f64 v[90:91], v[70:71], s[36:37], v[138:139]
	v_add_f64 v[48:49], v[48:49], v[98:99]
	v_mul_f64 v[98:99], v[72:73], s[20:21]
	v_fma_f64 v[80:81], v[70:71], s[6:7], v[92:93]
	v_add_f64 v[50:51], v[128:129], v[50:51]
	v_add_f64 v[88:89], v[130:131], v[88:89]
	;; [unrolled: 1-line block ×7, first 2 shown]
	v_add_f64 v[40:41], v[18:19], -v[26:27]
	v_add_f64 v[18:19], v[18:19], v[26:27]
	v_fma_f64 v[100:101], v[12:13], s[30:31], v[62:63]
	v_add_f64 v[26:27], v[78:79], v[34:35]
	v_mul_f64 v[34:35], v[74:75], s[42:43]
	v_fma_f64 v[62:63], v[12:13], s[38:39], v[62:63]
	v_mul_f64 v[78:79], v[72:73], s[40:41]
	v_add_f64 v[44:45], v[84:85], v[44:45]
	v_fma_f64 v[84:85], v[12:13], s[2:3], v[94:95]
	v_mul_f64 v[74:75], v[74:75], s[12:13]
	v_mul_f64 v[72:73], v[72:73], s[16:17]
	v_add_f64 v[32:33], v[86:87], v[32:33]
	v_fma_f64 v[86:87], v[70:71], s[6:7], -v[92:93]
	v_add_f64 v[46:47], v[90:91], v[46:47]
	v_fma_f64 v[90:91], v[70:71], s[20:21], v[96:97]
	v_fma_f64 v[92:93], v[12:13], s[0:1], v[94:95]
	;; [unrolled: 1-line block ×3, first 2 shown]
	v_fma_f64 v[96:97], v[70:71], s[20:21], -v[96:97]
	v_fma_f64 v[98:99], v[12:13], s[18:19], v[98:99]
	v_add_f64 v[60:61], v[80:81], v[60:61]
	v_mul_f64 v[104:105], v[40:41], s[30:31]
	v_mul_f64 v[24:25], v[18:19], s[36:37]
	v_add_f64 v[52:53], v[100:101], v[52:53]
	v_fma_f64 v[100:101], v[70:71], s[40:41], v[34:35]
	v_add_f64 v[56:57], v[62:63], v[56:57]
	v_fma_f64 v[62:63], v[12:13], s[34:35], v[78:79]
	v_fma_f64 v[34:35], v[70:71], s[40:41], -v[34:35]
	v_fma_f64 v[66:67], v[12:13], s[42:43], v[78:79]
	v_add_f64 v[76:77], v[84:85], v[76:77]
	v_fma_f64 v[78:79], v[70:71], s[16:17], v[74:75]
	v_fma_f64 v[80:81], v[12:13], s[14:15], v[72:73]
	v_fma_f64 v[70:71], v[70:71], s[16:17], -v[74:75]
	v_fma_f64 v[12:13], v[12:13], s[12:13], v[72:73]
	v_mul_f64 v[74:75], v[40:41], s[22:23]
	v_mul_f64 v[84:85], v[18:19], s[20:21]
	v_add_f64 v[14:15], v[86:87], v[14:15]
	v_add_f64 v[42:43], v[90:91], v[42:43]
	v_mul_f64 v[90:91], v[40:41], s[14:15]
	v_add_f64 v[36:37], v[92:93], v[36:37]
	v_mul_f64 v[92:93], v[18:19], s[16:17]
	v_add_f64 v[68:69], v[94:95], v[68:69]
	v_fma_f64 v[72:73], v[102:103], s[36:37], v[104:105]
	v_fma_f64 v[86:87], v[16:17], s[38:39], v[24:25]
	;; [unrolled: 1-line block ×3, first 2 shown]
	v_add_f64 v[38:39], v[96:97], v[38:39]
	v_add_f64 v[30:31], v[98:99], v[30:31]
	v_add_f64 v[96:97], v[0:1], -v[2:3]
	v_add_f64 v[62:63], v[62:63], v[82:83]
	v_add_f64 v[34:35], v[34:35], v[50:51]
	v_add_f64 v[50:51], v[66:67], v[88:89]
	v_fma_f64 v[66:67], v[102:103], s[36:37], -v[104:105]
	v_mul_f64 v[82:83], v[40:41], s[42:43]
	v_mul_f64 v[88:89], v[18:19], s[40:41]
	v_add_f64 v[58:59], v[78:79], v[58:59]
	v_add_f64 v[20:21], v[70:71], v[20:21]
	;; [unrolled: 1-line block ×3, first 2 shown]
	v_add_f64 v[22:23], v[4:5], -v[6:7]
	v_add_f64 v[4:5], v[4:5], v[6:7]
	v_fma_f64 v[70:71], v[16:17], s[18:19], v[84:85]
	v_mul_f64 v[78:79], v[40:41], s[0:1]
	v_add_f64 v[48:49], v[80:81], v[48:49]
	v_fma_f64 v[80:81], v[102:103], s[16:17], v[90:91]
	v_fma_f64 v[90:91], v[102:103], s[16:17], -v[90:91]
	v_add_f64 v[6:7], v[72:73], v[26:27]
	v_fma_f64 v[26:27], v[102:103], s[20:21], v[74:75]
	v_fma_f64 v[72:73], v[102:103], s[20:21], -v[74:75]
	v_add_f64 v[28:29], v[86:87], v[28:29]
	v_mul_f64 v[86:87], v[18:19], s[6:7]
	v_fma_f64 v[74:75], v[16:17], s[22:23], v[84:85]
	v_fma_f64 v[84:85], v[16:17], s[12:13], v[92:93]
	v_mul_f64 v[18:19], v[18:19], s[26:27]
	v_add_f64 v[32:33], v[24:25], v[32:33]
	v_add_f64 v[44:45], v[66:67], v[44:45]
	v_fma_f64 v[66:67], v[102:103], s[40:41], v[82:83]
	v_fma_f64 v[94:95], v[16:17], s[34:35], v[88:89]
	v_mul_f64 v[24:25], v[40:41], s[24:25]
	v_add_f64 v[40:41], v[0:1], v[2:3]
	v_fma_f64 v[2:3], v[16:17], s[42:43], v[88:89]
	v_add_f64 v[64:65], v[100:101], v[64:65]
	v_mul_f64 v[100:101], v[4:5], s[40:41]
	v_fma_f64 v[92:93], v[16:17], s[14:15], v[92:93]
	v_mul_f64 v[98:99], v[22:23], s[34:35]
	v_fma_f64 v[0:1], v[102:103], s[40:41], -v[82:83]
	v_mul_f64 v[82:83], v[22:23], s[0:1]
	v_mul_f64 v[88:89], v[4:5], s[36:37]
	v_add_f64 v[26:27], v[26:27], v[46:47]
	v_add_f64 v[46:47], v[70:71], v[52:53]
	;; [unrolled: 1-line block ×3, first 2 shown]
	v_fma_f64 v[54:55], v[102:103], s[6:7], v[78:79]
	v_fma_f64 v[70:71], v[16:17], s[2:3], v[86:87]
	v_add_f64 v[72:73], v[74:75], v[56:57]
	v_add_f64 v[74:75], v[90:91], v[14:15]
	v_fma_f64 v[14:15], v[102:103], s[6:7], -v[78:79]
	v_add_f64 v[56:57], v[80:81], v[60:61]
	v_add_f64 v[60:61], v[84:85], v[76:77]
	;; [unrolled: 1-line block ×4, first 2 shown]
	v_fma_f64 v[68:69], v[16:17], s[0:1], v[86:87]
	v_fma_f64 v[78:79], v[16:17], s[28:29], v[18:19]
	;; [unrolled: 1-line block ×3, first 2 shown]
	v_mul_f64 v[84:85], v[4:5], s[6:7]
	v_fma_f64 v[76:77], v[102:103], s[26:27], v[24:25]
	v_fma_f64 v[24:25], v[102:103], s[26:27], -v[24:25]
	v_add_f64 v[86:87], v[2:3], v[30:31]
	v_mul_f64 v[30:31], v[22:23], s[30:31]
	v_fma_f64 v[80:81], v[96:97], s[42:43], v[100:101]
	v_mul_f64 v[90:91], v[4:5], s[16:17]
	v_add_f64 v[36:37], v[92:93], v[36:37]
	v_fma_f64 v[18:19], v[40:41], s[40:41], v[98:99]
	v_mul_f64 v[92:93], v[4:5], s[26:27]
	v_add_f64 v[54:55], v[54:55], v[64:65]
	v_mul_f64 v[64:65], v[22:23], s[12:13]
	v_add_f64 v[62:63], v[70:71], v[62:63]
	;; [unrolled: 2-line block ×3, first 2 shown]
	v_mul_f64 v[14:15], v[22:23], s[22:23]
	v_mul_f64 v[4:5], v[4:5], s[20:21]
	v_fma_f64 v[22:23], v[96:97], s[38:39], v[88:89]
	v_add_f64 v[38:39], v[0:1], v[38:39]
	v_add_f64 v[50:51], v[68:69], v[50:51]
	;; [unrolled: 1-line block ×4, first 2 shown]
	v_fma_f64 v[12:13], v[40:41], s[6:7], v[82:83]
	v_fma_f64 v[16:17], v[96:97], s[2:3], v[84:85]
	v_add_f64 v[68:69], v[76:77], v[58:59]
	v_add_f64 v[76:77], v[24:25], v[20:21]
	v_fma_f64 v[20:21], v[40:41], s[36:37], v[30:31]
	v_add_f64 v[2:3], v[80:81], v[28:29]
	v_fma_f64 v[24:25], v[40:41], s[36:37], -v[30:31]
	v_fma_f64 v[30:31], v[96:97], s[14:15], v[90:91]
	v_add_f64 v[0:1], v[18:19], v[6:7]
	v_fma_f64 v[18:19], v[40:41], s[6:7], -v[82:83]
	v_fma_f64 v[80:81], v[96:97], s[28:29], v[92:93]
	v_fma_f64 v[28:29], v[40:41], s[16:17], v[64:65]
	v_fma_f64 v[58:59], v[40:41], s[16:17], -v[64:65]
	v_fma_f64 v[64:65], v[40:41], s[26:27], v[70:71]
	v_fma_f64 v[6:7], v[40:41], s[40:41], -v[98:99]
	v_fma_f64 v[82:83], v[40:41], s[20:21], v[14:15]
	v_fma_f64 v[94:95], v[96:97], s[18:19], v[4:5]
	v_fma_f64 v[70:71], v[40:41], s[26:27], -v[70:71]
	v_fma_f64 v[40:41], v[40:41], s[20:21], -v[14:15]
	v_fma_f64 v[98:99], v[96:97], s[22:23], v[4:5]
	v_fma_f64 v[92:93], v[96:97], s[24:25], v[92:93]
	;; [unrolled: 1-line block ×6, first 2 shown]
	v_add_f64 v[12:13], v[12:13], v[26:27]
	v_add_f64 v[14:15], v[16:17], v[46:47]
	;; [unrolled: 1-line block ×7, first 2 shown]
	s_mov_b32 s0, 0xfc7729e9
	v_add_f64 v[28:29], v[28:29], v[42:43]
	v_add_f64 v[52:53], v[58:59], v[38:39]
	;; [unrolled: 1-line block ×15, first 2 shown]
	ds_write_b128 v255, v[8:11]
	ds_write_b128 v255, v[0:3] offset:2496
	ds_write_b128 v255, v[12:15] offset:4992
	;; [unrolled: 1-line block ×12, first 2 shown]
	s_waitcnt lgkmcnt(0)
	s_barrier
	buffer_gl0_inv
	ds_read_b128 v[0:3], v255
	ds_read_b128 v[4:7], v255 offset:2496
	s_clause 0x3
	buffer_load_dword v33, off, s[48:51], 0 offset:44
	buffer_load_dword v34, off, s[48:51], 0 offset:48
	;; [unrolled: 1-line block ×4, first 2 shown]
	ds_read_b128 v[8:11], v255 offset:4992
	s_clause 0x1
	buffer_load_dword v14, off, s[48:51], 0
	buffer_load_dword v15, off, s[48:51], 0 offset:4
	v_mad_u64_u32 v[26:27], null, s8, v200, 0
	s_mov_b32 s1, 0x3f402864
	s_mul_i32 s2, s9, 0x9c0
	s_mul_hi_u32 s3, s8, 0x9c0
	s_add_i32 s2, s3, s2
	s_mul_i32 s3, s8, 0x9c0
	s_waitcnt vmcnt(2) lgkmcnt(2)
	v_mul_f64 v[12:13], v[35:36], v[2:3]
	v_mul_f64 v[16:17], v[35:36], v[0:1]
	s_clause 0x3
	buffer_load_dword v35, off, s[48:51], 0 offset:28
	buffer_load_dword v36, off, s[48:51], 0 offset:32
	;; [unrolled: 1-line block ×4, first 2 shown]
	s_waitcnt vmcnt(5)
	v_mov_b32_e32 v32, v14
	v_mad_u64_u32 v[18:19], null, s10, v32, 0
	v_fma_f64 v[20:21], v[33:34], v[0:1], v[12:13]
	s_waitcnt vmcnt(4)
	ds_read_b128 v[12:15], v255 offset:7488
	v_mov_b32_e32 v0, v19
	v_mov_b32_e32 v19, v27
	v_fma_f64 v[16:17], v[33:34], v[2:3], -v[16:17]
	v_mad_u64_u32 v[32:33], null, s11, v32, v[0:1]
	v_mad_u64_u32 v[33:34], null, s9, v200, v[19:20]
	v_mov_b32_e32 v19, v32
	v_lshlrev_b64 v[18:19], 4, v[18:19]
	v_mov_b32_e32 v27, v33
	v_add_co_u32 v18, vcc_lo, s4, v18
	v_add_co_ci_u32_e32 v19, vcc_lo, s5, v19, vcc_lo
	s_waitcnt vmcnt(0) lgkmcnt(2)
	v_mul_f64 v[22:23], v[37:38], v[6:7]
	v_mul_f64 v[24:25], v[37:38], v[4:5]
	s_clause 0x3
	buffer_load_dword v37, off, s[48:51], 0 offset:124
	buffer_load_dword v38, off, s[48:51], 0 offset:128
	buffer_load_dword v39, off, s[48:51], 0 offset:132
	buffer_load_dword v40, off, s[48:51], 0 offset:136
	ds_read_b128 v[0:3], v255 offset:9984
	v_fma_f64 v[22:23], v[35:36], v[4:5], v[22:23]
	v_mul_f64 v[4:5], v[20:21], s[0:1]
	v_fma_f64 v[24:25], v[35:36], v[6:7], -v[24:25]
	v_mul_f64 v[6:7], v[16:17], s[0:1]
	v_lshlrev_b64 v[16:17], 4, v[26:27]
	v_add_co_u32 v36, vcc_lo, v18, v16
	s_waitcnt vmcnt(0) lgkmcnt(2)
	v_mul_f64 v[28:29], v[39:40], v[10:11]
	v_mul_f64 v[30:31], v[39:40], v[8:9]
	v_fma_f64 v[20:21], v[37:38], v[8:9], v[28:29]
	v_fma_f64 v[28:29], v[37:38], v[10:11], -v[30:31]
	s_clause 0x3
	buffer_load_dword v38, off, s[48:51], 0 offset:76
	buffer_load_dword v39, off, s[48:51], 0 offset:80
	;; [unrolled: 1-line block ×4, first 2 shown]
	ds_read_b128 v[8:11], v255 offset:12480
	v_add_co_ci_u32_e32 v37, vcc_lo, v19, v17, vcc_lo
	v_mul_f64 v[16:17], v[22:23], s[0:1]
	v_mul_f64 v[18:19], v[24:25], s[0:1]
	;; [unrolled: 1-line block ×4, first 2 shown]
	s_waitcnt vmcnt(0) lgkmcnt(2)
	v_mul_f64 v[30:31], v[40:41], v[14:15]
	v_mul_f64 v[32:33], v[40:41], v[12:13]
	s_clause 0x3
	buffer_load_dword v40, off, s[48:51], 0 offset:108
	buffer_load_dword v41, off, s[48:51], 0 offset:112
	;; [unrolled: 1-line block ×4, first 2 shown]
	v_fma_f64 v[24:25], v[38:39], v[12:13], v[30:31]
	v_fma_f64 v[28:29], v[38:39], v[14:15], -v[32:33]
	ds_read_b128 v[12:15], v255 offset:14976
	s_clause 0x3
	buffer_load_dword v46, off, s[48:51], 0 offset:12
	buffer_load_dword v47, off, s[48:51], 0 offset:16
	;; [unrolled: 1-line block ×4, first 2 shown]
	v_add_co_u32 v30, vcc_lo, v36, s3
	v_add_co_ci_u32_e32 v31, vcc_lo, s2, v37, vcc_lo
	global_store_dwordx4 v[36:37], v[4:7], off
	v_add_co_u32 v38, vcc_lo, v30, s3
	v_add_co_ci_u32_e32 v39, vcc_lo, s2, v31, vcc_lo
	v_mul_f64 v[4:5], v[24:25], s[0:1]
	v_mul_f64 v[6:7], v[28:29], s[0:1]
	s_waitcnt vmcnt(4) lgkmcnt(2)
	v_mul_f64 v[26:27], v[42:43], v[2:3]
	v_mul_f64 v[34:35], v[42:43], v[0:1]
	v_fma_f64 v[32:33], v[40:41], v[0:1], v[26:27]
	v_fma_f64 v[34:35], v[40:41], v[2:3], -v[34:35]
	ds_read_b128 v[0:3], v255 offset:17472
	global_store_dwordx4 v[30:31], v[16:19], off
	global_store_dwordx4 v[38:39], v[20:23], off
	s_waitcnt vmcnt(0) lgkmcnt(2)
	v_mul_f64 v[40:41], v[48:49], v[10:11]
	v_mul_f64 v[42:43], v[48:49], v[8:9]
	s_clause 0x3
	buffer_load_dword v48, off, s[48:51], 0 offset:60
	buffer_load_dword v49, off, s[48:51], 0 offset:64
	;; [unrolled: 1-line block ×4, first 2 shown]
	ds_read_b128 v[16:19], v255 offset:19968
	ds_read_b128 v[20:23], v255 offset:22464
	;; [unrolled: 1-line block ×5, first 2 shown]
	s_clause 0x3
	buffer_load_dword v68, off, s[48:51], 0 offset:92
	buffer_load_dword v69, off, s[48:51], 0 offset:96
	;; [unrolled: 1-line block ×4, first 2 shown]
	v_add_co_u32 v38, vcc_lo, v38, s3
	v_add_co_ci_u32_e32 v39, vcc_lo, s2, v39, vcc_lo
	v_mul_f64 v[52:53], v[32:33], s[0:1]
	v_mul_f64 v[54:55], v[34:35], s[0:1]
	v_fma_f64 v[8:9], v[46:47], v[8:9], v[40:41]
	v_fma_f64 v[10:11], v[46:47], v[10:11], -v[42:43]
	v_add_co_u32 v40, vcc_lo, v38, s3
	v_add_co_ci_u32_e32 v41, vcc_lo, s2, v39, vcc_lo
	s_waitcnt vmcnt(4) lgkmcnt(6)
	v_mul_f64 v[36:37], v[50:51], v[14:15]
	v_mul_f64 v[44:45], v[50:51], v[12:13]
	s_waitcnt vmcnt(0) lgkmcnt(5)
	v_mul_f64 v[32:33], v[70:71], v[2:3]
	v_mul_f64 v[34:35], v[70:71], v[0:1]
	s_clause 0x3
	buffer_load_dword v70, off, s[48:51], 0 offset:140
	buffer_load_dword v71, off, s[48:51], 0 offset:144
	buffer_load_dword v72, off, s[48:51], 0 offset:148
	buffer_load_dword v73, off, s[48:51], 0 offset:152
	v_fma_f64 v[12:13], v[48:49], v[12:13], v[36:37]
	v_fma_f64 v[14:15], v[48:49], v[14:15], -v[44:45]
	s_waitcnt vmcnt(0) lgkmcnt(4)
	v_mul_f64 v[42:43], v[72:73], v[18:19]
	v_mul_f64 v[46:47], v[72:73], v[16:17]
	s_clause 0x3
	buffer_load_dword v72, off, s[48:51], 0 offset:156
	buffer_load_dword v73, off, s[48:51], 0 offset:160
	buffer_load_dword v74, off, s[48:51], 0 offset:164
	buffer_load_dword v75, off, s[48:51], 0 offset:168
	v_fma_f64 v[16:17], v[70:71], v[16:17], v[42:43]
	v_fma_f64 v[18:19], v[70:71], v[18:19], -v[46:47]
	;; [unrolled: 10-line block ×4, first 2 shown]
	s_waitcnt vmcnt(0) lgkmcnt(1)
	v_mul_f64 v[60:61], v[78:79], v[30:31]
	v_mul_f64 v[62:63], v[78:79], v[28:29]
	s_clause 0x3
	buffer_load_dword v78, off, s[48:51], 0 offset:204
	buffer_load_dword v79, off, s[48:51], 0 offset:208
	;; [unrolled: 1-line block ×4, first 2 shown]
	global_store_dwordx4 v[38:39], v[4:7], off
	global_store_dwordx4 v[40:41], v[52:55], off
	v_mul_f64 v[4:5], v[8:9], s[0:1]
	v_mul_f64 v[6:7], v[10:11], s[0:1]
	v_fma_f64 v[8:9], v[68:69], v[0:1], v[32:33]
	v_fma_f64 v[10:11], v[68:69], v[2:3], -v[34:35]
	v_add_co_u32 v32, vcc_lo, v40, s3
	v_add_co_ci_u32_e32 v33, vcc_lo, s2, v41, vcc_lo
	v_mul_f64 v[0:1], v[12:13], s[0:1]
	v_add_co_u32 v38, vcc_lo, v32, s3
	v_add_co_ci_u32_e32 v39, vcc_lo, s2, v33, vcc_lo
	v_mul_f64 v[2:3], v[14:15], s[0:1]
	v_add_co_u32 v40, vcc_lo, v38, s3
	v_add_co_ci_u32_e32 v41, vcc_lo, s2, v39, vcc_lo
	v_fma_f64 v[28:29], v[76:77], v[28:29], v[60:61]
	v_fma_f64 v[30:31], v[76:77], v[30:31], -v[62:63]
	v_add_co_u32 v42, vcc_lo, v40, s3
	v_mul_f64 v[12:13], v[16:17], s[0:1]
	v_mul_f64 v[14:15], v[18:19], s[0:1]
	;; [unrolled: 1-line block ×4, first 2 shown]
	v_add_co_ci_u32_e32 v43, vcc_lo, s2, v41, vcc_lo
	v_mul_f64 v[16:17], v[20:21], s[0:1]
	v_mul_f64 v[18:19], v[22:23], s[0:1]
	;; [unrolled: 1-line block ×4, first 2 shown]
	global_store_dwordx4 v[32:33], v[4:7], off
	global_store_dwordx4 v[38:39], v[0:3], off
	v_mul_f64 v[24:25], v[28:29], s[0:1]
	v_mul_f64 v[26:27], v[30:31], s[0:1]
	global_store_dwordx4 v[40:41], v[8:11], off
	s_waitcnt vmcnt(0) lgkmcnt(0)
	v_mul_f64 v[64:65], v[80:81], v[58:59]
	v_mul_f64 v[66:67], v[80:81], v[56:57]
	v_fma_f64 v[34:35], v[78:79], v[56:57], v[64:65]
	v_fma_f64 v[36:37], v[78:79], v[58:59], -v[66:67]
	v_mul_f64 v[28:29], v[34:35], s[0:1]
	v_mul_f64 v[30:31], v[36:37], s[0:1]
	v_add_co_u32 v34, vcc_lo, v42, s3
	v_add_co_ci_u32_e32 v35, vcc_lo, s2, v43, vcc_lo
	v_add_co_u32 v4, vcc_lo, v34, s3
	v_add_co_ci_u32_e32 v5, vcc_lo, s2, v35, vcc_lo
	;; [unrolled: 2-line block ×4, first 2 shown]
	global_store_dwordx4 v[42:43], v[12:15], off
	global_store_dwordx4 v[34:35], v[16:19], off
	;; [unrolled: 1-line block ×5, first 2 shown]
.LBB0_18:
	s_endpgm
	.section	.rodata,"a",@progbits
	.p2align	6, 0x0
	.amdhsa_kernel bluestein_single_fwd_len2028_dim1_dp_op_CI_CI
		.amdhsa_group_segment_fixed_size 32448
		.amdhsa_private_segment_fixed_size 264
		.amdhsa_kernarg_size 104
		.amdhsa_user_sgpr_count 6
		.amdhsa_user_sgpr_private_segment_buffer 1
		.amdhsa_user_sgpr_dispatch_ptr 0
		.amdhsa_user_sgpr_queue_ptr 0
		.amdhsa_user_sgpr_kernarg_segment_ptr 1
		.amdhsa_user_sgpr_dispatch_id 0
		.amdhsa_user_sgpr_flat_scratch_init 0
		.amdhsa_user_sgpr_private_segment_size 0
		.amdhsa_wavefront_size32 1
		.amdhsa_uses_dynamic_stack 0
		.amdhsa_system_sgpr_private_segment_wavefront_offset 1
		.amdhsa_system_sgpr_workgroup_id_x 1
		.amdhsa_system_sgpr_workgroup_id_y 0
		.amdhsa_system_sgpr_workgroup_id_z 0
		.amdhsa_system_sgpr_workgroup_info 0
		.amdhsa_system_vgpr_workitem_id 0
		.amdhsa_next_free_vgpr 256
		.amdhsa_next_free_sgpr 52
		.amdhsa_reserve_vcc 1
		.amdhsa_reserve_flat_scratch 0
		.amdhsa_float_round_mode_32 0
		.amdhsa_float_round_mode_16_64 0
		.amdhsa_float_denorm_mode_32 3
		.amdhsa_float_denorm_mode_16_64 3
		.amdhsa_dx10_clamp 1
		.amdhsa_ieee_mode 1
		.amdhsa_fp16_overflow 0
		.amdhsa_workgroup_processor_mode 1
		.amdhsa_memory_ordered 1
		.amdhsa_forward_progress 0
		.amdhsa_shared_vgpr_count 0
		.amdhsa_exception_fp_ieee_invalid_op 0
		.amdhsa_exception_fp_denorm_src 0
		.amdhsa_exception_fp_ieee_div_zero 0
		.amdhsa_exception_fp_ieee_overflow 0
		.amdhsa_exception_fp_ieee_underflow 0
		.amdhsa_exception_fp_ieee_inexact 0
		.amdhsa_exception_int_div_zero 0
	.end_amdhsa_kernel
	.text
.Lfunc_end0:
	.size	bluestein_single_fwd_len2028_dim1_dp_op_CI_CI, .Lfunc_end0-bluestein_single_fwd_len2028_dim1_dp_op_CI_CI
                                        ; -- End function
	.section	.AMDGPU.csdata,"",@progbits
; Kernel info:
; codeLenInByte = 26536
; NumSgprs: 54
; NumVgprs: 256
; ScratchSize: 264
; MemoryBound: 0
; FloatMode: 240
; IeeeMode: 1
; LDSByteSize: 32448 bytes/workgroup (compile time only)
; SGPRBlocks: 6
; VGPRBlocks: 31
; NumSGPRsForWavesPerEU: 54
; NumVGPRsForWavesPerEU: 256
; Occupancy: 4
; WaveLimiterHint : 1
; COMPUTE_PGM_RSRC2:SCRATCH_EN: 1
; COMPUTE_PGM_RSRC2:USER_SGPR: 6
; COMPUTE_PGM_RSRC2:TRAP_HANDLER: 0
; COMPUTE_PGM_RSRC2:TGID_X_EN: 1
; COMPUTE_PGM_RSRC2:TGID_Y_EN: 0
; COMPUTE_PGM_RSRC2:TGID_Z_EN: 0
; COMPUTE_PGM_RSRC2:TIDIG_COMP_CNT: 0
	.text
	.p2alignl 6, 3214868480
	.fill 48, 4, 3214868480
	.type	__hip_cuid_f9e11aff431c7864,@object ; @__hip_cuid_f9e11aff431c7864
	.section	.bss,"aw",@nobits
	.globl	__hip_cuid_f9e11aff431c7864
__hip_cuid_f9e11aff431c7864:
	.byte	0                               ; 0x0
	.size	__hip_cuid_f9e11aff431c7864, 1

	.ident	"AMD clang version 19.0.0git (https://github.com/RadeonOpenCompute/llvm-project roc-6.4.0 25133 c7fe45cf4b819c5991fe208aaa96edf142730f1d)"
	.section	".note.GNU-stack","",@progbits
	.addrsig
	.addrsig_sym __hip_cuid_f9e11aff431c7864
	.amdgpu_metadata
---
amdhsa.kernels:
  - .args:
      - .actual_access:  read_only
        .address_space:  global
        .offset:         0
        .size:           8
        .value_kind:     global_buffer
      - .actual_access:  read_only
        .address_space:  global
        .offset:         8
        .size:           8
        .value_kind:     global_buffer
      - .actual_access:  read_only
        .address_space:  global
        .offset:         16
        .size:           8
        .value_kind:     global_buffer
      - .actual_access:  read_only
        .address_space:  global
        .offset:         24
        .size:           8
        .value_kind:     global_buffer
      - .actual_access:  read_only
        .address_space:  global
        .offset:         32
        .size:           8
        .value_kind:     global_buffer
      - .offset:         40
        .size:           8
        .value_kind:     by_value
      - .address_space:  global
        .offset:         48
        .size:           8
        .value_kind:     global_buffer
      - .address_space:  global
        .offset:         56
        .size:           8
        .value_kind:     global_buffer
      - .address_space:  global
        .offset:         64
        .size:           8
        .value_kind:     global_buffer
      - .address_space:  global
        .offset:         72
        .size:           8
        .value_kind:     global_buffer
      - .offset:         80
        .size:           4
        .value_kind:     by_value
      - .address_space:  global
        .offset:         88
        .size:           8
        .value_kind:     global_buffer
      - .address_space:  global
        .offset:         96
        .size:           8
        .value_kind:     global_buffer
    .group_segment_fixed_size: 32448
    .kernarg_segment_align: 8
    .kernarg_segment_size: 104
    .language:       OpenCL C
    .language_version:
      - 2
      - 0
    .max_flat_workgroup_size: 156
    .name:           bluestein_single_fwd_len2028_dim1_dp_op_CI_CI
    .private_segment_fixed_size: 264
    .sgpr_count:     54
    .sgpr_spill_count: 0
    .symbol:         bluestein_single_fwd_len2028_dim1_dp_op_CI_CI.kd
    .uniform_work_group_size: 1
    .uses_dynamic_stack: false
    .vgpr_count:     256
    .vgpr_spill_count: 65
    .wavefront_size: 32
    .workgroup_processor_mode: 1
amdhsa.target:   amdgcn-amd-amdhsa--gfx1030
amdhsa.version:
  - 1
  - 2
...

	.end_amdgpu_metadata
